;; amdgpu-corpus repo=ROCm/rocFFT kind=compiled arch=gfx1030 opt=O3
	.text
	.amdgcn_target "amdgcn-amd-amdhsa--gfx1030"
	.amdhsa_code_object_version 6
	.protected	bluestein_single_fwd_len357_dim1_sp_op_CI_CI ; -- Begin function bluestein_single_fwd_len357_dim1_sp_op_CI_CI
	.globl	bluestein_single_fwd_len357_dim1_sp_op_CI_CI
	.p2align	8
	.type	bluestein_single_fwd_len357_dim1_sp_op_CI_CI,@function
bluestein_single_fwd_len357_dim1_sp_op_CI_CI: ; @bluestein_single_fwd_len357_dim1_sp_op_CI_CI
; %bb.0:
	s_load_dwordx4 s[8:11], s[4:5], 0x28
	v_mul_u32_u24_e32 v1, 0xf10, v0
	s_mov_b64 s[22:23], s[2:3]
	s_mov_b64 s[20:21], s[0:1]
	s_mov_b32 s0, exec_lo
	s_add_u32 s20, s20, s7
	v_lshrrev_b32_e32 v1, 16, v1
	s_addc_u32 s21, s21, 0
	v_mad_u64_u32 v[128:129], null, s6, 11, v[1:2]
	v_mov_b32_e32 v129, 0
	s_waitcnt lgkmcnt(0)
	v_cmpx_gt_u64_e64 s[8:9], v[128:129]
	s_cbranch_execz .LBB0_15
; %bb.1:
	s_clause 0x1
	s_load_dwordx4 s[0:3], s[4:5], 0x18
	s_load_dwordx2 s[6:7], s[4:5], 0x0
	v_mul_lo_u16 v1, v1, 17
	v_sub_nc_u16 v40, v0, v1
	v_and_b32_e32 v120, 0xffff, v40
	v_lshlrev_b32_e32 v74, 3, v120
	v_or_b32_e32 v137, 0x50, v120
	v_or_b32_e32 v114, 0xa4, v120
	s_waitcnt lgkmcnt(0)
	s_load_dwordx4 s[12:15], s[0:1], 0x0
	s_clause 0x3
	global_load_dwordx2 v[172:173], v74, s[6:7]
	global_load_dwordx2 v[170:171], v74, s[6:7] offset:168
	global_load_dwordx2 v[133:134], v74, s[6:7] offset:336
	;; [unrolled: 1-line block ×3, first 2 shown]
	v_add_co_u32 v121, s0, s6, v74
	v_add_co_ci_u32_e64 v122, null, s7, 0, s0
	s_clause 0x8
	global_load_dwordx2 v[174:175], v74, s[6:7] offset:672
	global_load_dwordx2 v[104:105], v74, s[6:7] offset:840
	;; [unrolled: 1-line block ×9, first 2 shown]
	v_or_b32_e32 v115, 0xf8, v120
	v_or_b32_e32 v113, 0x14c, v120
	s_waitcnt lgkmcnt(0)
	v_mad_u64_u32 v[0:1], null, s14, v128, 0
	v_mad_u64_u32 v[2:3], null, s12, v120, 0
	s_mul_i32 s1, s13, 21
	s_mul_hi_u32 s8, s12, 21
	s_mul_i32 s0, s12, 21
	s_add_i32 s1, s8, s1
	s_lshl_b64 s[16:17], s[0:1], 3
	v_mad_u64_u32 v[4:5], null, s15, v128, v[1:2]
	s_load_dwordx2 s[14:15], s[4:5], 0x38
	v_mad_u64_u32 v[5:6], null, s13, v120, v[3:4]
	v_mov_b32_e32 v1, v4
	v_lshlrev_b64 v[0:1], 3, v[0:1]
	v_mov_b32_e32 v3, v5
	v_add_co_u32 v4, vcc_lo, s10, v0
	v_lshlrev_b64 v[2:3], 3, v[2:3]
	v_add_co_ci_u32_e32 v5, vcc_lo, s11, v1, vcc_lo
	v_add_co_u32 v0, vcc_lo, v4, v2
	v_add_co_ci_u32_e32 v1, vcc_lo, v5, v3, vcc_lo
	v_add_co_u32 v2, vcc_lo, v0, s16
	;; [unrolled: 2-line block ×4, first 2 shown]
	v_add_co_ci_u32_e32 v7, vcc_lo, s17, v3, vcc_lo
	s_clause 0x1
	global_load_dwordx2 v[46:47], v[138:139], off offset:136
	global_load_dwordx2 v[118:119], v[138:139], off offset:304
	v_add_co_u32 v8, vcc_lo, v6, s16
	v_add_co_ci_u32_e32 v9, vcc_lo, s17, v7, vcc_lo
	global_load_dwordx2 v[10:11], v[0:1], off
	v_add_co_u32 v0, vcc_lo, v8, s16
	v_add_co_ci_u32_e32 v1, vcc_lo, s17, v9, vcc_lo
	s_clause 0x2
	global_load_dwordx2 v[12:13], v[2:3], off
	global_load_dwordx2 v[6:7], v[6:7], off
	;; [unrolled: 1-line block ×3, first 2 shown]
	v_add_co_u32 v2, vcc_lo, v0, s16
	v_add_co_ci_u32_e32 v3, vcc_lo, s17, v1, vcc_lo
	global_load_dwordx2 v[14:15], v[0:1], off
	v_add_co_u32 v0, vcc_lo, v2, s16
	v_add_co_ci_u32_e32 v1, vcc_lo, s17, v3, vcc_lo
	global_load_dwordx2 v[16:17], v[2:3], off
	;; [unrolled: 3-line block ×4, first 2 shown]
	v_add_co_u32 v2, vcc_lo, v0, s16
	global_load_dwordx2 v[22:23], v[0:1], off
	v_add_co_ci_u32_e32 v3, vcc_lo, s17, v1, vcc_lo
	v_add_co_u32 v0, vcc_lo, v2, s16
	v_add_co_ci_u32_e32 v1, vcc_lo, s17, v3, vcc_lo
	global_load_dwordx2 v[24:25], v[2:3], off
	v_add_co_u32 v2, vcc_lo, v0, s16
	v_add_co_ci_u32_e32 v3, vcc_lo, s17, v1, vcc_lo
	global_load_dwordx2 v[26:27], v[0:1], off
	;; [unrolled: 3-line block ×7, first 2 shown]
	s_clause 0x1
	global_load_dwordx2 v[124:125], v[138:139], off offset:472
	global_load_dwordx2 v[126:127], v[138:139], off offset:640
	global_load_dwordx2 v[38:39], v[0:1], off
	v_mul_hi_u32 v2, 0xba2e8ba3, v128
	v_cmp_gt_u16_e32 vcc_lo, 4, v40
	s_load_dwordx4 s[8:11], s[2:3], 0x0
	v_lshrrev_b32_e32 v2, 3, v2
	v_mul_lo_u32 v2, v2, 11
	v_sub_nc_u32_e32 v2, v128, v2
	v_mul_u32_u24_e32 v70, 0x165, v2
	v_lshlrev_b32_e32 v106, 3, v70
	v_add_nc_u32_e32 v169, v74, v106
	v_add_nc_u32_e32 v2, 0x400, v169
	s_waitcnt vmcnt(18)
	v_mul_f32_e32 v40, v11, v173
	v_mul_f32_e32 v3, v10, v173
	s_waitcnt vmcnt(17)
	v_mul_f32_e32 v42, v13, v171
	v_mul_f32_e32 v43, v12, v171
	v_fmac_f32_e32 v40, v10, v172
	v_fma_f32 v41, v11, v172, -v3
	s_waitcnt vmcnt(16)
	v_mul_f32_e32 v10, v7, v134
	v_fmac_f32_e32 v42, v12, v170
	v_fma_f32 v43, v13, v170, -v43
	v_mul_f32_e32 v11, v6, v134
	s_waitcnt vmcnt(15)
	v_mul_f32_e32 v12, v9, v136
	v_fmac_f32_e32 v10, v6, v133
	s_waitcnt vmcnt(14)
	v_mul_f32_e32 v6, v15, v175
	ds_write2_b64 v169, v[40:41], v[42:43] offset1:21
	v_fma_f32 v11, v7, v133, -v11
	v_mul_f32_e32 v7, v8, v136
	v_fmac_f32_e32 v12, v8, v135
	v_mul_f32_e32 v40, v14, v175
	s_waitcnt vmcnt(13)
	v_mul_f32_e32 v8, v17, v105
	v_mul_f32_e32 v41, v16, v105
	v_fma_f32 v13, v9, v135, -v7
	v_fmac_f32_e32 v6, v14, v174
	v_fma_f32 v7, v15, v174, -v40
	v_fmac_f32_e32 v8, v16, v104
	v_fma_f32 v9, v17, v104, -v41
	ds_write2_b64 v169, v[10:11], v[12:13] offset0:42 offset1:63
	s_waitcnt vmcnt(11)
	v_mul_f32_e32 v10, v21, v49
	v_mul_f32_e32 v14, v19, v141
	v_mul_f32_e32 v15, v18, v141
	ds_write2_b64 v169, v[6:7], v[8:9] offset0:84 offset1:105
	s_waitcnt vmcnt(10)
	v_mul_f32_e32 v6, v23, v51
	v_mul_f32_e32 v7, v20, v49
	v_fmac_f32_e32 v10, v20, v48
	v_mul_f32_e32 v9, v22, v51
	buffer_store_dword v48, off, s[20:23], 0 offset:16 ; 4-byte Folded Spill
	buffer_store_dword v49, off, s[20:23], 0 offset:20 ; 4-byte Folded Spill
	v_fmac_f32_e32 v6, v22, v50
	buffer_store_dword v50, off, s[20:23], 0 offset:24 ; 4-byte Folded Spill
	buffer_store_dword v51, off, s[20:23], 0 offset:28 ; 4-byte Folded Spill
	s_waitcnt vmcnt(9)
	v_mul_f32_e32 v8, v25, v130
	v_mul_f32_e32 v12, v24, v130
	v_fmac_f32_e32 v14, v18, v140
	v_fma_f32 v15, v19, v140, -v15
	v_add_nc_u32_e32 v3, 0x800, v169
	v_fmac_f32_e32 v8, v24, v129
	s_waitcnt vmcnt(2)
	v_mul_f32_e32 v16, v37, v125
	v_mul_f32_e32 v17, v36, v125
	s_waitcnt vmcnt(0)
	v_mul_f32_e32 v18, v39, v127
	v_mul_f32_e32 v19, v38, v127
	v_fmac_f32_e32 v16, v36, v124
	v_fma_f32 v17, v37, v124, -v17
	v_fmac_f32_e32 v18, v38, v126
	v_fma_f32 v19, v39, v126, -v19
	v_fma_f32 v11, v21, v48, -v7
	v_fma_f32 v7, v23, v50, -v9
	v_fma_f32 v9, v25, v129, -v12
	v_mul_f32_e32 v12, v29, v45
	ds_write2_b64 v169, v[14:15], v[10:11] offset0:126 offset1:147
	v_mul_f32_e32 v10, v27, v132
	v_mul_f32_e32 v11, v26, v132
	ds_write2_b64 v169, v[6:7], v[8:9] offset0:168 offset1:189
	v_mul_f32_e32 v7, v28, v45
	v_fmac_f32_e32 v12, v28, v44
	buffer_store_dword v44, off, s[20:23], 0 offset:8 ; 4-byte Folded Spill
	buffer_store_dword v45, off, s[20:23], 0 offset:12 ; 4-byte Folded Spill
	v_mul_f32_e32 v8, v33, v47
	v_mul_f32_e32 v9, v32, v47
	v_mul_f32_e32 v6, v31, v117
	v_mul_f32_e32 v14, v35, v119
	v_mul_f32_e32 v15, v34, v119
	v_fmac_f32_e32 v8, v32, v46
	buffer_store_dword v46, off, s[20:23], 0 ; 4-byte Folded Spill
	buffer_store_dword v47, off, s[20:23], 0 offset:4 ; 4-byte Folded Spill
	v_fmac_f32_e32 v10, v26, v131
	v_fma_f32 v11, v27, v131, -v11
	v_fmac_f32_e32 v6, v30, v116
	v_fmac_f32_e32 v14, v34, v118
	v_fma_f32 v15, v35, v118, -v15
	v_fma_f32 v13, v29, v44, -v7
	v_mul_f32_e32 v7, v30, v117
	v_fma_f32 v7, v31, v116, -v7
	v_fma_f32 v9, v33, v46, -v9
	ds_write2_b64 v169, v[10:11], v[12:13] offset0:210 offset1:231
	ds_write2_b64 v2, v[6:7], v[8:9] offset0:124 offset1:145
	;; [unrolled: 1-line block ×3, first 2 shown]
	ds_write_b64 v169, v[18:19] offset:2688
	s_and_saveexec_b32 s1, vcc_lo
	s_cbranch_execz .LBB0_3
; %bb.2:
	v_mad_u64_u32 v[0:1], null, 0xfffff608, s12, v[0:1]
	s_mul_i32 s0, s13, 0xfffff608
	v_mad_u64_u32 v[6:7], null, s12, v137, 0
	s_sub_i32 s0, s0, s12
	v_mad_u64_u32 v[19:20], null, s12, v115, 0
	v_add_nc_u32_e32 v1, s0, v1
	v_add_co_u32 v10, s0, v0, s16
	v_mad_u64_u32 v[7:8], null, s13, v137, v[7:8]
	v_add_co_ci_u32_e64 v11, s0, s17, v1, s0
	v_add_co_u32 v12, s0, v10, s16
	v_mad_u64_u32 v[8:9], null, s12, v114, 0
	v_add_co_ci_u32_e64 v13, s0, s17, v11, s0
	global_load_dwordx2 v[0:1], v[0:1], off
	global_load_dwordx2 v[10:11], v[10:11], off
	;; [unrolled: 1-line block ×3, first 2 shown]
	v_lshlrev_b64 v[6:7], 3, v[6:7]
	s_mul_i32 s2, s12, 0x150
	s_mul_i32 s3, s13, 0x150
	s_mul_hi_u32 s18, s12, 0x150
	v_mad_u64_u32 v[21:22], null, s12, v113, 0
	v_add_co_u32 v6, s0, v4, v6
	v_add_co_ci_u32_e64 v7, s0, v5, v7, s0
	v_add_co_u32 v12, s0, v12, s2
	s_add_i32 s18, s18, s3
	global_load_dwordx2 v[6:7], v[6:7], off
	v_add_co_ci_u32_e64 v13, s0, s18, v13, s0
	s_clause 0x3
	global_load_dwordx2 v[23:24], v[121:122], off offset:136
	global_load_dwordx2 v[25:26], v[121:122], off offset:304
	;; [unrolled: 1-line block ×4, first 2 shown]
	s_waitcnt vmcnt(6)
	v_mad_u64_u32 v[16:17], null, s13, v114, v[9:10]
	v_add_co_u32 v17, s0, v12, s16
	v_add_co_ci_u32_e64 v18, s0, s17, v13, s0
	global_load_dwordx2 v[12:13], v[12:13], off
	v_mov_b32_e32 v9, v16
	v_mov_b32_e32 v16, v20
	global_load_dwordx2 v[31:32], v[17:18], off
	v_lshlrev_b64 v[8:9], 3, v[8:9]
	v_mad_u64_u32 v[33:34], null, s13, v115, v[16:17]
	v_mov_b32_e32 v16, v22
	s_waitcnt vmcnt(5)
	v_mul_f32_e32 v69, v0, v24
	v_add_co_u32 v8, s0, v4, v8
	v_mad_u64_u32 v[34:35], null, s13, v113, v[16:17]
	v_mov_b32_e32 v20, v33
	v_add_co_ci_u32_e64 v9, s0, v5, v9, s0
	v_add_co_u32 v16, s0, v17, s16
	v_add_co_ci_u32_e64 v17, s0, s17, v18, s0
	v_mov_b32_e32 v22, v34
	v_lshlrev_b64 v[18:19], 3, v[19:20]
	global_load_dwordx2 v[8:9], v[8:9], off
	s_clause 0x3
	global_load_dwordx2 v[33:34], v[121:122], off offset:808
	global_load_dwordx2 v[35:36], v[121:122], off offset:976
	;; [unrolled: 1-line block ×4, first 2 shown]
	v_lshlrev_b64 v[20:21], 3, v[21:22]
	v_lshlrev_b32_e32 v22, 3, v113
	v_add_co_u32 v18, s0, v4, v18
	v_add_co_ci_u32_e64 v19, s0, v5, v19, s0
	v_add_co_u32 v4, s0, v4, v20
	v_add_co_ci_u32_e64 v5, s0, v5, v21, s0
	;; [unrolled: 2-line block ×3, first 2 shown]
	global_load_dwordx2 v[18:19], v[18:19], off
	global_load_dwordx2 v[41:42], v[121:122], off offset:1984
	global_load_dwordx2 v[4:5], v[4:5], off
	global_load_dwordx2 v[43:44], v22, s[6:7]
	global_load_dwordx2 v[16:17], v[16:17], off
	v_add_co_u32 v45, s0, v20, s16
	v_add_co_ci_u32_e64 v46, s0, s17, v21, s0
	global_load_dwordx2 v[20:21], v[20:21], off
	v_add_co_u32 v47, s0, v45, s16
	v_add_co_ci_u32_e64 v48, s0, s17, v46, s0
	;; [unrolled: 3-line block ×3, first 2 shown]
	s_clause 0x1
	global_load_dwordx2 v[51:52], v[121:122], off offset:1480
	global_load_dwordx2 v[53:54], v[121:122], off offset:1648
	v_add_co_u32 v55, s0, v49, s16
	v_add_co_ci_u32_e64 v56, s0, s17, v50, s0
	global_load_dwordx2 v[57:58], v[121:122], off offset:1816
	global_load_dwordx2 v[47:48], v[47:48], off
	global_load_dwordx2 v[49:50], v[49:50], off
	global_load_dwordx2 v[59:60], v[138:139], off offset:104
	global_load_dwordx2 v[61:62], v[55:56], off
	v_add_co_u32 v55, s0, v55, s16
	v_add_co_ci_u32_e64 v56, s0, s17, v56, s0
	global_load_dwordx2 v[63:64], v[138:139], off offset:272
	v_add_co_u32 v65, s0, v55, s2
	v_add_co_ci_u32_e64 v66, s0, s18, v56, s0
	global_load_dwordx2 v[55:56], v[55:56], off
	s_clause 0x1
	global_load_dwordx2 v[67:68], v[138:139], off offset:440
	global_load_dwordx2 v[71:72], v[138:139], off offset:776
	global_load_dwordx2 v[65:66], v[65:66], off
	v_mul_f32_e32 v22, v1, v24
	s_waitcnt vmcnt(28)
	v_mul_f32_e32 v24, v11, v26
	v_mul_f32_e32 v26, v10, v26
	v_fmac_f32_e32 v22, v0, v23
	v_fma_f32 v23, v1, v23, -v69
	s_waitcnt vmcnt(27)
	v_mul_f32_e32 v0, v15, v28
	v_mul_f32_e32 v1, v14, v28
	v_fmac_f32_e32 v24, v10, v25
	v_fma_f32 v25, v11, v25, -v26
	v_fmac_f32_e32 v0, v14, v27
	v_fma_f32 v1, v15, v27, -v1
	s_waitcnt vmcnt(26)
	v_mul_f32_e32 v14, v7, v30
	v_mul_f32_e32 v15, v6, v30
	ds_write2_b64 v169, v[22:23], v[24:25] offset0:17 offset1:38
	v_fmac_f32_e32 v14, v6, v29
	v_fma_f32 v15, v7, v29, -v15
	ds_write2_b64 v169, v[0:1], v[14:15] offset0:59 offset1:80
	s_waitcnt vmcnt(22)
	v_mul_f32_e32 v10, v13, v34
	v_mul_f32_e32 v11, v12, v34
	s_waitcnt vmcnt(19)
	v_mul_f32_e32 v22, v9, v40
	v_mul_f32_e32 v23, v8, v40
	v_fmac_f32_e32 v10, v12, v33
	v_fma_f32 v11, v13, v33, -v11
	v_mul_f32_e32 v12, v32, v36
	v_mul_f32_e32 v13, v31, v36
	v_fmac_f32_e32 v22, v8, v39
	v_fma_f32 v23, v9, v39, -v23
	v_fmac_f32_e32 v12, v31, v35
	v_fma_f32 v13, v32, v35, -v13
	s_waitcnt vmcnt(17)
	v_mul_f32_e32 v24, v19, v42
	v_mul_f32_e32 v25, v18, v42
	s_waitcnt vmcnt(15)
	v_mul_f32_e32 v26, v5, v44
	v_mul_f32_e32 v27, v4, v44
	;; [unrolled: 3-line block ×3, first 2 shown]
	ds_write2_b64 v169, v[10:11], v[12:13] offset0:101 offset1:122
	v_fmac_f32_e32 v26, v4, v43
	v_fma_f32 v27, v5, v43, -v27
	v_fmac_f32_e32 v28, v16, v37
	v_fma_f32 v29, v17, v37, -v30
	;; [unrolled: 2-line block ×3, first 2 shown]
	ds_write2_b64 v169, v[28:29], v[22:23] offset0:143 offset1:164
	s_waitcnt vmcnt(11)
	v_mul_f32_e32 v4, v21, v52
	v_mul_f32_e32 v5, v20, v52
	s_waitcnt vmcnt(10)
	v_mul_f32_e32 v0, v46, v54
	v_mul_f32_e32 v1, v45, v54
	;; [unrolled: 3-line block ×4, first 2 shown]
	v_fmac_f32_e32 v4, v20, v51
	v_fma_f32 v5, v21, v51, -v5
	v_fmac_f32_e32 v0, v45, v53
	s_waitcnt vmcnt(4)
	v_mul_f32_e32 v10, v62, v64
	v_mul_f32_e32 v11, v61, v64
	v_fma_f32 v1, v46, v53, -v1
	s_waitcnt vmcnt(2)
	v_mul_f32_e32 v12, v56, v68
	v_mul_f32_e32 v13, v55, v68
	s_waitcnt vmcnt(0)
	v_mul_f32_e32 v14, v66, v72
	v_mul_f32_e32 v15, v65, v72
	v_fmac_f32_e32 v6, v47, v57
	v_fma_f32 v7, v48, v57, -v7
	v_fmac_f32_e32 v8, v49, v59
	v_fma_f32 v9, v50, v59, -v9
	;; [unrolled: 2-line block ×5, first 2 shown]
	ds_write2_b64 v169, v[4:5], v[0:1] offset0:185 offset1:206
	ds_write2_b64 v169, v[6:7], v[24:25] offset0:227 offset1:248
	ds_write2_b64 v3, v[8:9], v[10:11] offset0:13 offset1:34
	ds_write2_b64 v3, v[12:13], v[26:27] offset0:55 offset1:76
	ds_write_b64 v169, v[14:15] offset:2824
.LBB0_3:
	s_or_b32 exec_lo, exec_lo, s1
	s_waitcnt lgkmcnt(0)
	s_waitcnt_vscnt null, 0x0
	s_barrier
	buffer_gl0_inv
	ds_read2_b64 v[60:63], v169 offset1:21
	ds_read2_b64 v[52:55], v169 offset0:42 offset1:63
	ds_read2_b64 v[44:47], v169 offset0:84 offset1:105
	;; [unrolled: 1-line block ×7, first 2 shown]
	ds_read_b64 v[66:67], v169 offset:2688
	s_load_dwordx2 s[0:1], s[4:5], 0x8
	v_mov_b32_e32 v0, 0
	v_mov_b32_e32 v1, 0
                                        ; implicit-def: $vgpr18
                                        ; implicit-def: $vgpr12
                                        ; implicit-def: $vgpr4
                                        ; implicit-def: $vgpr8
                                        ; implicit-def: $vgpr64
                                        ; implicit-def: $vgpr30
                                        ; implicit-def: $vgpr34
                                        ; implicit-def: $vgpr22
	s_and_saveexec_b32 s2, vcc_lo
	s_cbranch_execz .LBB0_5
; %bb.4:
	v_add_nc_u32_e32 v8, 0x800, v169
	ds_read2_b64 v[0:3], v169 offset0:17 offset1:38
	ds_read2_b64 v[20:23], v169 offset0:59 offset1:80
	;; [unrolled: 1-line block ×8, first 2 shown]
	ds_read_b64 v[64:65], v169 offset:2824
.LBB0_5:
	s_or_b32 exec_lo, exec_lo, s2
	s_waitcnt lgkmcnt(0)
	v_add_f32_e32 v68, v60, v62
	v_add_f32_e32 v69, v61, v63
	v_sub_f32_e32 v72, v63, v67
	v_add_f32_e32 v75, v67, v63
	v_add_f32_e32 v71, v66, v62
	;; [unrolled: 1-line block ×4, first 2 shown]
	v_sub_f32_e32 v73, v62, v66
	v_mul_f32_e32 v62, 0xbeb8f4ab, v72
	v_mul_f32_e32 v78, 0xbf65296c, v72
	v_add_f32_e32 v63, v68, v54
	v_add_f32_e32 v68, v69, v55
	v_mul_f32_e32 v77, 0xbf2c7751, v73
	v_fma_f32 v83, 0x3f6eb680, v71, -v62
	v_fmac_f32_e32 v62, 0x3f6eb680, v71
	v_add_f32_e32 v63, v63, v44
	v_add_f32_e32 v68, v68, v45
	v_mul_f32_e32 v79, 0xbf65296c, v73
	v_mul_f32_e32 v80, 0xbf7ee86f, v72
	;; [unrolled: 1-line block ×3, first 2 shown]
	v_add_f32_e32 v63, v63, v46
	v_add_f32_e32 v68, v68, v47
	;; [unrolled: 1-line block ×3, first 2 shown]
	v_fmamk_f32 v86, v75, 0x3f3d2fb0, v77
	v_fma_f32 v87, 0x3ee437d1, v71, -v78
	v_add_f32_e32 v63, v63, v36
	v_add_f32_e32 v68, v68, v37
	v_fmamk_f32 v88, v75, 0x3ee437d1, v79
	v_fma_f32 v89, 0x3dbcf732, v71, -v80
	v_fmamk_f32 v90, v75, 0x3dbcf732, v81
	v_add_f32_e32 v63, v63, v38
	v_add_f32_e32 v68, v68, v39
	v_mul_f32_e32 v76, 0xbf2c7751, v72
	v_mul_f32_e32 v82, 0xbf763a35, v72
	;; [unrolled: 1-line block ×3, first 2 shown]
	v_add_f32_e32 v63, v63, v24
	v_add_f32_e32 v68, v68, v25
	v_mul_f32_e32 v69, 0xbeb8f4ab, v73
	v_fma_f32 v85, 0x3f3d2fb0, v71, -v76
	v_fmac_f32_e32 v76, 0x3f3d2fb0, v71
	v_add_f32_e32 v63, v63, v26
	v_add_f32_e32 v68, v68, v27
	v_fmac_f32_e32 v78, 0x3ee437d1, v71
	v_fmac_f32_e32 v80, 0x3dbcf732, v71
	v_fma_f32 v81, 0x3dbcf732, v75, -v81
	v_add_f32_e32 v63, v63, v40
	v_add_f32_e32 v68, v68, v41
	v_fma_f32 v91, 0xbe8c1d8e, v71, -v82
	v_fmac_f32_e32 v82, 0xbe8c1d8e, v71
	v_mul_f32_e32 v93, 0xbf4c4adb, v73
	v_add_f32_e32 v63, v63, v42
	v_add_f32_e32 v68, v68, v43
	v_mul_f32_e32 v97, 0xbf06c442, v73
	v_fma_f32 v98, 0xbf59a7d5, v71, -v96
	v_fmac_f32_e32 v96, 0xbf59a7d5, v71
	v_add_f32_e32 v63, v63, v48
	v_add_f32_e32 v68, v68, v49
	v_sub_f32_e32 v101, v53, v59
	v_fmamk_f32 v84, v75, 0x3f6eb680, v69
	v_fma_f32 v69, 0x3f6eb680, v75, -v69
	v_add_f32_e32 v62, v63, v50
	v_add_f32_e32 v63, v68, v51
	;; [unrolled: 1-line block ×9, first 2 shown]
	v_mul_f32_e32 v90, 0xbf4c4adb, v72
	v_add_f32_e32 v62, v62, v58
	v_mul_f32_e32 v72, 0xbe3c28d5, v72
	v_add_f32_e32 v63, v63, v59
	v_fma_f32 v77, 0x3f3d2fb0, v75, -v77
	v_fma_f32 v94, 0xbf1a4643, v71, -v90
	v_add_f32_e32 v62, v62, v66
	v_mul_f32_e32 v66, 0xbf763a35, v73
	v_fmac_f32_e32 v90, 0xbf1a4643, v71
	v_fma_f32 v100, 0xbf7ba420, v71, -v72
	v_mul_f32_e32 v73, 0xbe3c28d5, v73
	v_fmac_f32_e32 v72, 0xbf7ba420, v71
	v_sub_f32_e32 v71, v52, v58
	v_fma_f32 v79, 0x3ee437d1, v75, -v79
	v_add_f32_e32 v63, v63, v67
	v_add_f32_e32 v67, v60, v80
	;; [unrolled: 1-line block ×4, first 2 shown]
	v_fmamk_f32 v91, v75, 0xbe8c1d8e, v66
	v_fma_f32 v66, 0xbe8c1d8e, v75, -v66
	v_fmamk_f32 v95, v75, 0xbf1a4643, v93
	v_fma_f32 v93, 0xbf1a4643, v75, -v93
	;; [unrolled: 2-line block ×3, first 2 shown]
	v_fmamk_f32 v102, v75, 0xbf7ba420, v73
	v_add_f32_e32 v52, v58, v52
	v_mul_f32_e32 v58, 0xbf2c7751, v101
	v_fma_f32 v73, 0xbf7ba420, v75, -v73
	v_add_f32_e32 v53, v59, v53
	v_mul_f32_e32 v59, 0xbf2c7751, v71
	v_add_f32_e32 v83, v60, v83
	v_add_f32_e32 v84, v61, v84
	;; [unrolled: 1-line block ×21, first 2 shown]
	v_fma_f32 v102, 0x3f3d2fb0, v52, -v58
	v_add_f32_e32 v60, v60, v72
	v_add_f32_e32 v61, v61, v73
	v_fmamk_f32 v72, v53, 0x3f3d2fb0, v59
	v_mul_f32_e32 v73, 0xbf7ee86f, v101
	v_fma_f32 v59, 0x3f3d2fb0, v53, -v59
	v_add_f32_e32 v83, v102, v83
	v_fmac_f32_e32 v58, 0x3f3d2fb0, v52
	v_add_f32_e32 v72, v72, v84
	v_fma_f32 v84, 0x3dbcf732, v52, -v73
	v_mul_f32_e32 v102, 0xbf7ee86f, v71
	v_add_f32_e32 v59, v59, v69
	v_mul_f32_e32 v69, 0xbf4c4adb, v101
	v_add_f32_e32 v58, v58, v92
	v_add_f32_e32 v84, v84, v85
	v_fmamk_f32 v85, v53, 0x3dbcf732, v102
	v_fmac_f32_e32 v73, 0x3dbcf732, v52
	v_fma_f32 v92, 0x3dbcf732, v53, -v102
	v_fma_f32 v102, 0xbf1a4643, v52, -v69
	v_mul_f32_e32 v103, 0xbf4c4adb, v71
	v_add_f32_e32 v68, v85, v68
	v_add_f32_e32 v73, v73, v76
	v_add_f32_e32 v76, v92, v77
	v_add_f32_e32 v77, v102, v86
	v_fmamk_f32 v85, v53, 0xbf1a4643, v103
	v_mul_f32_e32 v86, 0xbe3c28d5, v101
	v_fmac_f32_e32 v69, 0xbf1a4643, v52
	v_fma_f32 v92, 0xbf1a4643, v53, -v103
	v_mul_f32_e32 v102, 0xbe3c28d5, v71
	v_add_f32_e32 v85, v85, v87
	v_fma_f32 v87, 0xbf7ba420, v52, -v86
	v_add_f32_e32 v69, v69, v78
	v_add_f32_e32 v78, v92, v79
	v_fmamk_f32 v79, v53, 0xbf7ba420, v102
	v_mul_f32_e32 v92, 0x3f06c442, v101
	v_fmac_f32_e32 v86, 0xbf7ba420, v52
	v_add_f32_e32 v87, v87, v88
	v_fma_f32 v88, 0xbf7ba420, v53, -v102
	v_add_f32_e32 v79, v79, v89
	v_fma_f32 v89, 0xbf59a7d5, v52, -v92
	v_mul_f32_e32 v102, 0x3f06c442, v71
	v_add_f32_e32 v67, v86, v67
	v_mul_f32_e32 v86, 0x3f763a35, v101
	v_add_f32_e32 v80, v88, v80
	v_add_f32_e32 v81, v89, v81
	v_fmamk_f32 v88, v53, 0xbf59a7d5, v102
	v_fmac_f32_e32 v92, 0xbf59a7d5, v52
	v_fma_f32 v89, 0xbf59a7d5, v53, -v102
	v_fma_f32 v102, 0xbe8c1d8e, v52, -v86
	v_mul_f32_e32 v103, 0x3f763a35, v71
	v_add_f32_e32 v88, v88, v91
	v_add_f32_e32 v82, v92, v82
	;; [unrolled: 1-line block ×4, first 2 shown]
	v_fmamk_f32 v91, v53, 0xbe8c1d8e, v103
	v_mul_f32_e32 v92, 0x3f65296c, v101
	v_fmac_f32_e32 v86, 0xbe8c1d8e, v52
	v_mul_f32_e32 v94, 0x3f65296c, v71
	v_mul_f32_e32 v101, 0x3eb8f4ab, v101
	v_add_f32_e32 v91, v91, v95
	v_fma_f32 v95, 0x3ee437d1, v52, -v92
	v_add_f32_e32 v86, v86, v90
	v_fmamk_f32 v90, v53, 0x3ee437d1, v94
	v_fmac_f32_e32 v92, 0x3ee437d1, v52
	v_fma_f32 v94, 0x3ee437d1, v53, -v94
	v_add_f32_e32 v95, v95, v98
	v_fma_f32 v98, 0x3f6eb680, v52, -v101
	v_add_f32_e32 v90, v90, v99
	v_mul_f32_e32 v71, 0x3eb8f4ab, v71
	v_add_f32_e32 v92, v92, v96
	v_sub_f32_e32 v96, v55, v57
	v_add_f32_e32 v99, v56, v54
	v_sub_f32_e32 v54, v54, v56
	v_fma_f32 v102, 0xbe8c1d8e, v53, -v103
	v_add_f32_e32 v94, v94, v97
	v_add_f32_e32 v97, v98, v100
	v_fmamk_f32 v98, v53, 0x3f6eb680, v71
	v_mul_f32_e32 v100, 0xbf65296c, v96
	v_fmac_f32_e32 v101, 0x3f6eb680, v52
	v_fma_f32 v52, 0x3f6eb680, v53, -v71
	v_add_f32_e32 v53, v57, v55
	v_mul_f32_e32 v56, 0xbf65296c, v54
	v_fma_f32 v55, 0x3ee437d1, v99, -v100
	v_add_f32_e32 v57, v98, v75
	v_add_f32_e32 v52, v52, v61
	v_mul_f32_e32 v71, 0xbf4c4adb, v96
	v_fmamk_f32 v61, v53, 0x3ee437d1, v56
	v_fma_f32 v56, 0x3ee437d1, v53, -v56
	v_mul_f32_e32 v75, 0xbf4c4adb, v54
	v_add_f32_e32 v55, v55, v83
	v_mul_f32_e32 v83, 0x3e3c28d5, v96
	v_add_f32_e32 v61, v61, v72
	v_fma_f32 v72, 0xbf1a4643, v99, -v71
	v_add_f32_e32 v56, v56, v59
	v_fmamk_f32 v59, v53, 0xbf1a4643, v75
	v_fmac_f32_e32 v71, 0xbf1a4643, v99
	v_fma_f32 v75, 0xbf1a4643, v53, -v75
	v_add_f32_e32 v72, v72, v84
	v_mul_f32_e32 v84, 0x3e3c28d5, v54
	v_add_f32_e32 v59, v59, v68
	v_fma_f32 v68, 0xbf7ba420, v99, -v83
	v_add_f32_e32 v71, v71, v73
	v_add_f32_e32 v73, v75, v76
	v_mul_f32_e32 v75, 0x3f763a35, v96
	v_fmamk_f32 v76, v53, 0xbf7ba420, v84
	v_add_f32_e32 v68, v68, v77
	v_fmac_f32_e32 v83, 0xbf7ba420, v99
	v_fma_f32 v77, 0xbf7ba420, v53, -v84
	v_fma_f32 v84, 0xbe8c1d8e, v99, -v75
	v_mul_f32_e32 v98, 0x3f763a35, v54
	v_add_f32_e32 v76, v76, v85
	v_add_f32_e32 v69, v83, v69
	v_add_f32_e32 v77, v77, v78
	v_add_f32_e32 v78, v84, v87
	v_fmamk_f32 v83, v53, 0xbe8c1d8e, v98
	v_mul_f32_e32 v84, 0x3f2c7751, v96
	v_fmac_f32_e32 v75, 0xbe8c1d8e, v99
	v_fma_f32 v85, 0xbe8c1d8e, v53, -v98
	v_mul_f32_e32 v87, 0x3f2c7751, v54
	v_add_f32_e32 v79, v83, v79
	v_fma_f32 v83, 0x3f3d2fb0, v99, -v84
	v_add_f32_e32 v67, v75, v67
	v_add_f32_e32 v75, v85, v80
	v_fmamk_f32 v80, v53, 0x3f3d2fb0, v87
	v_mul_f32_e32 v85, 0xbeb8f4ab, v96
	v_add_f32_e32 v81, v83, v81
	v_fmac_f32_e32 v84, 0x3f3d2fb0, v99
	v_fma_f32 v83, 0x3f3d2fb0, v53, -v87
	v_add_f32_e32 v80, v80, v88
	v_fma_f32 v87, 0x3f6eb680, v99, -v85
	v_mul_f32_e32 v88, 0xbeb8f4ab, v54
	v_add_f32_e32 v93, v102, v93
	v_add_f32_e32 v82, v84, v82
	;; [unrolled: 1-line block ×3, first 2 shown]
	v_mul_f32_e32 v83, 0xbf7ee86f, v96
	v_add_f32_e32 v84, v87, v89
	v_fmamk_f32 v87, v53, 0x3f6eb680, v88
	v_fmac_f32_e32 v85, 0x3f6eb680, v99
	v_fma_f32 v88, 0x3f6eb680, v53, -v88
	v_mul_f32_e32 v98, 0xbf7ee86f, v54
	v_fma_f32 v89, 0x3dbcf732, v99, -v83
	v_fmac_f32_e32 v83, 0x3dbcf732, v99
	v_add_f32_e32 v85, v85, v86
	v_add_f32_e32 v86, v88, v93
	v_fma_f32 v93, 0x3dbcf732, v53, -v98
	v_add_f32_e32 v87, v87, v91
	v_add_f32_e32 v88, v89, v95
	v_fmamk_f32 v89, v53, 0x3dbcf732, v98
	v_mul_f32_e32 v91, 0xbf06c442, v96
	v_mul_f32_e32 v54, 0xbf06c442, v54
	v_add_f32_e32 v83, v83, v92
	v_add_f32_e32 v92, v93, v94
	v_sub_f32_e32 v93, v45, v51
	v_add_f32_e32 v94, v50, v44
	v_sub_f32_e32 v44, v44, v50
	v_add_f32_e32 v60, v101, v60
	v_add_f32_e32 v89, v89, v90
	v_fma_f32 v90, 0xbf59a7d5, v99, -v91
	v_fmamk_f32 v95, v53, 0xbf59a7d5, v54
	v_mul_f32_e32 v50, 0xbf7ee86f, v93
	v_fmac_f32_e32 v91, 0xbf59a7d5, v99
	v_fma_f32 v53, 0xbf59a7d5, v53, -v54
	v_add_f32_e32 v45, v51, v45
	v_mul_f32_e32 v51, 0xbf7ee86f, v44
	v_fmac_f32_e32 v100, 0x3ee437d1, v99
	v_fma_f32 v54, 0x3dbcf732, v94, -v50
	v_add_f32_e32 v60, v91, v60
	v_add_f32_e32 v52, v53, v52
	v_mul_f32_e32 v53, 0xbe3c28d5, v93
	v_fmamk_f32 v91, v45, 0x3dbcf732, v51
	v_add_f32_e32 v58, v100, v58
	v_add_f32_e32 v54, v54, v55
	v_fmac_f32_e32 v50, 0x3dbcf732, v94
	v_fma_f32 v55, 0xbf7ba420, v94, -v53
	v_add_f32_e32 v61, v91, v61
	v_mul_f32_e32 v91, 0xbe3c28d5, v44
	v_fma_f32 v51, 0x3dbcf732, v45, -v51
	v_add_f32_e32 v50, v50, v58
	v_add_f32_e32 v55, v55, v72
	v_fmac_f32_e32 v53, 0xbf7ba420, v94
	v_fmamk_f32 v58, v45, 0xbf7ba420, v91
	v_fma_f32 v72, 0xbf7ba420, v45, -v91
	v_mul_f32_e32 v91, 0x3f763a35, v44
	v_add_f32_e32 v51, v51, v56
	v_mul_f32_e32 v56, 0x3f763a35, v93
	v_add_f32_e32 v53, v53, v71
	v_add_f32_e32 v57, v95, v57
	v_fmamk_f32 v71, v45, 0xbe8c1d8e, v91
	v_add_f32_e32 v58, v58, v59
	v_fma_f32 v95, 0xbe8c1d8e, v94, -v56
	v_add_f32_e32 v59, v72, v73
	v_mul_f32_e32 v72, 0x3eb8f4ab, v93
	v_fmac_f32_e32 v56, 0xbe8c1d8e, v94
	v_fma_f32 v73, 0xbe8c1d8e, v45, -v91
	v_add_f32_e32 v71, v71, v76
	v_mul_f32_e32 v76, 0x3eb8f4ab, v44
	v_fma_f32 v91, 0x3f6eb680, v94, -v72
	v_add_f32_e32 v56, v56, v69
	v_add_f32_e32 v69, v73, v77
	v_mul_f32_e32 v73, 0xbf65296c, v93
	v_fmamk_f32 v77, v45, 0x3f6eb680, v76
	v_add_f32_e32 v78, v91, v78
	v_fmac_f32_e32 v72, 0x3f6eb680, v94
	v_fma_f32 v76, 0x3f6eb680, v45, -v76
	v_fma_f32 v91, 0x3ee437d1, v94, -v73
	v_add_f32_e32 v77, v77, v79
	v_mul_f32_e32 v79, 0xbf65296c, v44
	v_add_f32_e32 v67, v72, v67
	v_add_f32_e32 v72, v76, v75
	;; [unrolled: 1-line block ×3, first 2 shown]
	v_mul_f32_e32 v76, 0xbf06c442, v93
	v_fmamk_f32 v81, v45, 0x3ee437d1, v79
	v_fmac_f32_e32 v73, 0x3ee437d1, v94
	v_fma_f32 v79, 0x3ee437d1, v45, -v79
	v_mul_f32_e32 v91, 0xbf06c442, v44
	v_add_f32_e32 v68, v95, v68
	v_fma_f32 v95, 0xbf59a7d5, v94, -v76
	v_add_f32_e32 v73, v73, v82
	v_add_f32_e32 v66, v79, v66
	v_fmamk_f32 v79, v45, 0xbf59a7d5, v91
	v_mul_f32_e32 v82, 0x3f4c4adb, v93
	v_fmac_f32_e32 v76, 0xbf59a7d5, v94
	v_add_f32_e32 v80, v81, v80
	v_add_f32_e32 v81, v95, v84
	v_fma_f32 v84, 0xbf59a7d5, v45, -v91
	v_add_f32_e32 v79, v79, v87
	v_mul_f32_e32 v87, 0x3f4c4adb, v44
	v_fma_f32 v91, 0xbf1a4643, v94, -v82
	v_add_f32_e32 v76, v76, v85
	v_mul_f32_e32 v85, 0x3f2c7751, v93
	v_add_f32_e32 v90, v90, v97
	v_add_f32_e32 v84, v84, v86
	v_fmamk_f32 v86, v45, 0xbf1a4643, v87
	v_add_f32_e32 v88, v91, v88
	v_fmac_f32_e32 v82, 0xbf1a4643, v94
	v_fma_f32 v87, 0xbf1a4643, v45, -v87
	v_fma_f32 v91, 0x3f3d2fb0, v94, -v85
	v_add_f32_e32 v86, v86, v89
	v_mul_f32_e32 v44, 0x3f2c7751, v44
	v_add_f32_e32 v82, v82, v83
	v_add_f32_e32 v83, v87, v92
	;; [unrolled: 1-line block ×3, first 2 shown]
	v_sub_f32_e32 v89, v47, v49
	v_sub_f32_e32 v91, v46, v48
	v_fmamk_f32 v90, v45, 0x3f3d2fb0, v44
	v_fmac_f32_e32 v85, 0x3f3d2fb0, v94
	v_add_f32_e32 v46, v48, v46
	v_mul_f32_e32 v48, 0xbf763a35, v89
	v_fma_f32 v44, 0x3f3d2fb0, v45, -v44
	v_add_f32_e32 v45, v49, v47
	v_mul_f32_e32 v47, 0xbf763a35, v91
	v_add_f32_e32 v49, v90, v57
	v_fma_f32 v57, 0xbe8c1d8e, v46, -v48
	v_add_f32_e32 v60, v85, v60
	v_add_f32_e32 v44, v44, v52
	v_fmamk_f32 v52, v45, 0xbe8c1d8e, v47
	v_mul_f32_e32 v85, 0x3f06c442, v89
	v_fmac_f32_e32 v48, 0xbe8c1d8e, v46
	v_add_f32_e32 v54, v57, v54
	v_fma_f32 v47, 0xbe8c1d8e, v45, -v47
	v_add_f32_e32 v52, v52, v61
	v_fma_f32 v57, 0xbf59a7d5, v46, -v85
	v_mul_f32_e32 v61, 0x3f06c442, v91
	v_add_f32_e32 v48, v48, v50
	v_mul_f32_e32 v50, 0x3f2c7751, v89
	v_add_f32_e32 v47, v47, v51
	v_add_f32_e32 v51, v57, v55
	v_fmamk_f32 v55, v45, 0xbf59a7d5, v61
	v_fma_f32 v57, 0xbf59a7d5, v45, -v61
	v_fma_f32 v61, 0x3f3d2fb0, v46, -v50
	v_mul_f32_e32 v90, 0x3f2c7751, v91
	v_fmac_f32_e32 v85, 0xbf59a7d5, v46
	v_add_f32_e32 v55, v55, v58
	v_add_f32_e32 v57, v57, v59
	v_add_f32_e32 v58, v61, v68
	v_fmamk_f32 v59, v45, 0x3f3d2fb0, v90
	v_mul_f32_e32 v61, 0xbf65296c, v89
	v_add_f32_e32 v53, v85, v53
	v_fmac_f32_e32 v50, 0x3f3d2fb0, v46
	v_fma_f32 v68, 0x3f3d2fb0, v45, -v90
	v_mul_f32_e32 v85, 0xbf65296c, v91
	v_add_f32_e32 v59, v59, v71
	v_fma_f32 v71, 0x3ee437d1, v46, -v61
	v_add_f32_e32 v50, v50, v56
	v_add_f32_e32 v56, v68, v69
	v_fmamk_f32 v68, v45, 0x3ee437d1, v85
	v_mul_f32_e32 v69, 0xbe3c28d5, v89
	v_add_f32_e32 v71, v71, v78
	v_fmac_f32_e32 v61, 0x3ee437d1, v46
	v_fma_f32 v78, 0x3ee437d1, v45, -v85
	v_add_f32_e32 v68, v68, v77
	v_fma_f32 v77, 0xbf7ba420, v46, -v69
	v_mul_f32_e32 v85, 0xbe3c28d5, v91
	v_add_f32_e32 v61, v61, v67
	v_add_f32_e32 v67, v78, v72
	v_mul_f32_e32 v72, 0x3f7ee86f, v89
	v_add_f32_e32 v75, v77, v75
	v_fmamk_f32 v77, v45, 0xbf7ba420, v85
	v_fmac_f32_e32 v69, 0xbf7ba420, v46
	v_fma_f32 v78, 0xbf7ba420, v45, -v85
	v_fma_f32 v85, 0x3dbcf732, v46, -v72
	v_mul_f32_e32 v90, 0x3f7ee86f, v91
	v_add_f32_e32 v77, v77, v80
	v_add_f32_e32 v69, v69, v73
	;; [unrolled: 1-line block ×4, first 2 shown]
	v_fmamk_f32 v78, v45, 0x3dbcf732, v90
	v_mul_f32_e32 v80, 0xbeb8f4ab, v89
	v_fmac_f32_e32 v72, 0x3dbcf732, v46
	v_mul_f32_e32 v81, 0xbeb8f4ab, v91
	v_fma_f32 v85, 0x3dbcf732, v45, -v90
	v_add_f32_e32 v78, v78, v79
	v_fma_f32 v79, 0x3f6eb680, v46, -v80
	v_add_f32_e32 v72, v72, v76
	v_fmamk_f32 v76, v45, 0x3f6eb680, v81
	v_add_f32_e32 v84, v85, v84
	v_mul_f32_e32 v85, 0xbf4c4adb, v89
	v_fmac_f32_e32 v80, 0x3f6eb680, v46
	v_fma_f32 v81, 0x3f6eb680, v45, -v81
	v_add_f32_e32 v76, v76, v86
	v_add_f32_e32 v79, v79, v88
	v_fma_f32 v86, 0xbf1a4643, v46, -v85
	v_add_f32_e32 v80, v80, v82
	v_sub_f32_e32 v82, v37, v43
	v_mul_f32_e32 v88, 0xbf4c4adb, v91
	v_add_f32_e32 v81, v81, v83
	v_add_f32_e32 v83, v86, v87
	;; [unrolled: 1-line block ×3, first 2 shown]
	v_mul_f32_e32 v89, 0xbf4c4adb, v82
	v_sub_f32_e32 v36, v36, v42
	v_fmamk_f32 v86, v45, 0xbf1a4643, v88
	v_fmac_f32_e32 v85, 0xbf1a4643, v46
	v_fma_f32 v42, 0xbf1a4643, v45, -v88
	v_add_f32_e32 v37, v43, v37
	v_fma_f32 v43, 0xbf1a4643, v87, -v89
	v_mul_f32_e32 v45, 0xbf4c4adb, v36
	v_add_f32_e32 v46, v86, v49
	v_add_f32_e32 v49, v85, v60
	;; [unrolled: 1-line block ×4, first 2 shown]
	v_fmamk_f32 v44, v37, 0xbf1a4643, v45
	v_mul_f32_e32 v54, 0x3f763a35, v82
	v_fma_f32 v45, 0xbf1a4643, v37, -v45
	v_mul_f32_e32 v60, 0x3f763a35, v36
	v_mul_f32_e32 v85, 0xbeb8f4ab, v82
	v_add_f32_e32 v44, v44, v52
	v_fma_f32 v52, 0xbe8c1d8e, v87, -v54
	v_add_f32_e32 v45, v45, v47
	v_fmamk_f32 v47, v37, 0xbe8c1d8e, v60
	v_fmac_f32_e32 v54, 0xbe8c1d8e, v87
	v_mul_f32_e32 v86, 0xbf06c442, v36
	v_add_f32_e32 v51, v52, v51
	v_fma_f32 v52, 0xbe8c1d8e, v37, -v60
	v_add_f32_e32 v47, v47, v55
	v_fma_f32 v55, 0x3f6eb680, v87, -v85
	v_mul_f32_e32 v60, 0xbeb8f4ab, v36
	v_add_f32_e32 v53, v54, v53
	v_mul_f32_e32 v54, 0xbf06c442, v82
	v_add_f32_e32 v52, v52, v57
	v_add_f32_e32 v55, v55, v58
	v_fmamk_f32 v57, v37, 0x3f6eb680, v60
	v_fmac_f32_e32 v85, 0x3f6eb680, v87
	v_fma_f32 v58, 0x3f6eb680, v37, -v60
	v_fma_f32 v60, 0xbf59a7d5, v87, -v54
	v_fmac_f32_e32 v54, 0xbf59a7d5, v87
	v_add_f32_e32 v57, v57, v59
	v_add_f32_e32 v50, v85, v50
	;; [unrolled: 1-line block ×4, first 2 shown]
	v_fmamk_f32 v59, v37, 0xbf59a7d5, v86
	v_mul_f32_e32 v60, 0x3f7ee86f, v82
	v_fma_f32 v71, 0xbf59a7d5, v37, -v86
	v_mul_f32_e32 v85, 0x3f7ee86f, v36
	v_add_f32_e32 v54, v54, v61
	v_add_f32_e32 v59, v59, v68
	v_fma_f32 v68, 0x3dbcf732, v87, -v60
	v_add_f32_e32 v61, v71, v67
	v_fmamk_f32 v67, v37, 0x3dbcf732, v85
	v_mul_f32_e32 v71, 0xbf2c7751, v82
	v_fmac_f32_e32 v60, 0x3dbcf732, v87
	v_add_f32_e32 v68, v68, v75
	v_fma_f32 v75, 0x3dbcf732, v37, -v85
	v_add_f32_e32 v67, v67, v77
	v_fma_f32 v77, 0x3f3d2fb0, v87, -v71
	v_mul_f32_e32 v85, 0xbf2c7751, v36
	v_add_f32_e32 v60, v60, v69
	v_mul_f32_e32 v69, 0xbe3c28d5, v82
	v_add_f32_e32 v66, v75, v66
	v_add_f32_e32 v73, v77, v73
	v_fmamk_f32 v75, v37, 0x3f3d2fb0, v85
	v_fmac_f32_e32 v71, 0x3f3d2fb0, v87
	v_fma_f32 v77, 0x3f3d2fb0, v37, -v85
	v_fma_f32 v85, 0xbf7ba420, v87, -v69
	v_mul_f32_e32 v86, 0xbe3c28d5, v36
	v_fmac_f32_e32 v69, 0xbf7ba420, v87
	v_add_f32_e32 v71, v71, v72
	v_add_f32_e32 v72, v77, v84
	;; [unrolled: 1-line block ×3, first 2 shown]
	v_mul_f32_e32 v79, 0x3f65296c, v82
	v_fma_f32 v82, 0xbf7ba420, v37, -v86
	v_add_f32_e32 v75, v75, v78
	v_fmamk_f32 v78, v37, 0xbf7ba420, v86
	v_mul_f32_e32 v36, 0x3f65296c, v36
	v_add_f32_e32 v69, v69, v80
	v_add_f32_e32 v80, v82, v81
	v_sub_f32_e32 v81, v39, v41
	v_add_f32_e32 v82, v40, v38
	v_sub_f32_e32 v38, v38, v40
	v_add_f32_e32 v76, v78, v76
	v_fma_f32 v78, 0x3ee437d1, v87, -v79
	v_fmamk_f32 v84, v37, 0x3ee437d1, v36
	v_mul_f32_e32 v40, 0xbf06c442, v81
	v_fmac_f32_e32 v79, 0x3ee437d1, v87
	v_fma_f32 v36, 0x3ee437d1, v37, -v36
	v_add_f32_e32 v37, v41, v39
	v_mul_f32_e32 v39, 0xbf06c442, v38
	v_fmac_f32_e32 v89, 0xbf1a4643, v87
	v_fma_f32 v41, 0xbf59a7d5, v82, -v40
	v_add_f32_e32 v49, v79, v49
	v_add_f32_e32 v36, v36, v42
	v_mul_f32_e32 v42, 0x3f65296c, v81
	v_fmamk_f32 v79, v37, 0xbf59a7d5, v39
	v_add_f32_e32 v48, v89, v48
	v_add_f32_e32 v41, v41, v43
	v_fmac_f32_e32 v40, 0xbf59a7d5, v82
	v_fma_f32 v39, 0xbf59a7d5, v37, -v39
	v_fma_f32 v43, 0x3ee437d1, v82, -v42
	v_add_f32_e32 v44, v79, v44
	v_mul_f32_e32 v79, 0x3f65296c, v38
	v_add_f32_e32 v40, v40, v48
	v_add_f32_e32 v39, v39, v45
	;; [unrolled: 1-line block ×3, first 2 shown]
	v_mul_f32_e32 v45, 0xbf7ee86f, v81
	v_fmamk_f32 v48, v37, 0x3ee437d1, v79
	v_fma_f32 v51, 0x3ee437d1, v37, -v79
	v_mul_f32_e32 v79, 0xbf7ee86f, v38
	v_add_f32_e32 v78, v78, v83
	v_fmac_f32_e32 v42, 0x3ee437d1, v82
	v_fma_f32 v83, 0x3dbcf732, v82, -v45
	v_add_f32_e32 v47, v48, v47
	v_add_f32_e32 v48, v51, v52
	v_fmamk_f32 v51, v37, 0x3dbcf732, v79
	v_add_f32_e32 v42, v42, v53
	v_add_f32_e32 v52, v83, v55
	v_mul_f32_e32 v53, 0x3f4c4adb, v81
	v_fmac_f32_e32 v45, 0x3dbcf732, v82
	v_fma_f32 v55, 0x3dbcf732, v37, -v79
	v_add_f32_e32 v51, v51, v57
	v_mul_f32_e32 v57, 0x3f4c4adb, v38
	v_fma_f32 v79, 0xbf1a4643, v82, -v53
	v_add_f32_e32 v45, v45, v50
	v_add_f32_e32 v50, v55, v56
	v_mul_f32_e32 v55, 0xbeb8f4ab, v81
	v_fmamk_f32 v56, v37, 0xbf1a4643, v57
	v_add_f32_e32 v58, v79, v58
	v_fmac_f32_e32 v53, 0xbf1a4643, v82
	v_fma_f32 v57, 0xbf1a4643, v37, -v57
	v_fma_f32 v79, 0x3f6eb680, v82, -v55
	v_add_f32_e32 v56, v56, v59
	v_mul_f32_e32 v59, 0xbeb8f4ab, v38
	v_add_f32_e32 v53, v53, v54
	v_add_f32_e32 v54, v57, v61
	;; [unrolled: 1-line block ×3, first 2 shown]
	v_mul_f32_e32 v61, 0xbe3c28d5, v81
	v_fmamk_f32 v68, v37, 0x3f6eb680, v59
	v_fmac_f32_e32 v55, 0x3f6eb680, v82
	v_fma_f32 v59, 0x3f6eb680, v37, -v59
	v_mul_f32_e32 v79, 0xbe3c28d5, v38
	v_add_f32_e32 v46, v84, v46
	v_fma_f32 v83, 0xbf7ba420, v82, -v61
	v_add_f32_e32 v84, v68, v67
	v_add_f32_e32 v55, v55, v60
	;; [unrolled: 1-line block ×3, first 2 shown]
	v_fmamk_f32 v60, v37, 0xbf7ba420, v79
	v_mul_f32_e32 v66, 0x3f2c7751, v81
	v_fmac_f32_e32 v61, 0xbf7ba420, v82
	v_fma_f32 v67, 0xbf7ba420, v37, -v79
	v_mul_f32_e32 v68, 0x3f2c7751, v38
	v_add_f32_e32 v60, v60, v75
	v_fma_f32 v75, 0x3f3d2fb0, v82, -v66
	v_add_f32_e32 v61, v61, v71
	v_add_f32_e32 v71, v67, v72
	v_mul_f32_e32 v67, 0xbf763a35, v81
	v_fmamk_f32 v72, v37, 0x3f3d2fb0, v68
	v_add_f32_e32 v75, v75, v77
	v_fma_f32 v68, 0x3f3d2fb0, v37, -v68
	v_mul_f32_e32 v38, 0xbf763a35, v38
	v_fma_f32 v77, 0xbe8c1d8e, v82, -v67
	v_fmac_f32_e32 v66, 0x3f3d2fb0, v82
	v_add_f32_e32 v73, v83, v73
	v_add_f32_e32 v79, v68, v80
	v_sub_f32_e32 v80, v24, v26
	v_add_f32_e32 v77, v77, v78
	v_sub_f32_e32 v78, v25, v27
	v_add_f32_e32 v26, v26, v24
	v_fma_f32 v24, 0xbe8c1d8e, v37, -v38
	v_add_f32_e32 v27, v27, v25
	v_mul_f32_e32 v25, 0xbe3c28d5, v80
	v_mul_f32_e32 v68, 0xbe3c28d5, v78
	v_add_f32_e32 v72, v72, v76
	v_add_f32_e32 v76, v66, v69
	v_fmamk_f32 v66, v37, 0xbe8c1d8e, v38
	v_add_f32_e32 v83, v24, v36
	v_fma_f32 v37, 0xbf7ba420, v26, -v68
	v_fmamk_f32 v36, v27, 0xbf7ba420, v25
	v_mul_f32_e32 v38, 0x3eb8f4ab, v78
	v_fmac_f32_e32 v68, 0xbf7ba420, v26
	v_fmac_f32_e32 v67, 0xbe8c1d8e, v82
	v_add_f32_e32 v24, v37, v41
	v_fma_f32 v37, 0xbf7ba420, v27, -v25
	v_add_f32_e32 v25, v36, v44
	v_fma_f32 v41, 0x3f6eb680, v26, -v38
	v_mul_f32_e32 v44, 0x3eb8f4ab, v80
	v_add_f32_e32 v36, v68, v40
	v_mul_f32_e32 v40, 0xbf06c442, v78
	v_add_f32_e32 v81, v66, v46
	v_add_f32_e32 v37, v37, v39
	;; [unrolled: 1-line block ×3, first 2 shown]
	v_fmamk_f32 v39, v27, 0x3f6eb680, v44
	v_fmac_f32_e32 v38, 0x3f6eb680, v26
	v_fma_f32 v41, 0x3f6eb680, v27, -v44
	v_fma_f32 v43, 0xbf59a7d5, v26, -v40
	v_mul_f32_e32 v44, 0xbf06c442, v80
	v_fmac_f32_e32 v40, 0xbf59a7d5, v26
	v_add_f32_e32 v82, v67, v49
	v_add_f32_e32 v67, v39, v47
	;; [unrolled: 1-line block ×5, first 2 shown]
	v_fmamk_f32 v41, v27, 0xbf59a7d5, v44
	v_mul_f32_e32 v42, 0x3f2c7751, v78
	v_fma_f32 v43, 0xbf59a7d5, v27, -v44
	v_mul_f32_e32 v44, 0x3f2c7751, v80
	v_add_f32_e32 v40, v40, v45
	v_mul_f32_e32 v45, 0xbf4c4adb, v78
	v_add_f32_e32 v69, v41, v51
	v_fma_f32 v46, 0x3f3d2fb0, v26, -v42
	v_add_f32_e32 v41, v43, v50
	v_fmamk_f32 v43, v27, 0x3f3d2fb0, v44
	v_fmac_f32_e32 v42, 0x3f3d2fb0, v26
	v_fma_f32 v44, 0x3f3d2fb0, v27, -v44
	v_fma_f32 v48, 0xbf1a4643, v26, -v45
	v_mul_f32_e32 v49, 0xbf4c4adb, v80
	v_add_f32_e32 v47, v43, v56
	v_add_f32_e32 v42, v42, v53
	;; [unrolled: 1-line block ×3, first 2 shown]
	v_mul_f32_e32 v54, 0x3f65296c, v78
	v_add_f32_e32 v50, v48, v57
	v_fmamk_f32 v44, v27, 0xbf1a4643, v49
	v_fmac_f32_e32 v45, 0xbf1a4643, v26
	v_fma_f32 v48, 0xbf1a4643, v27, -v49
	v_mul_f32_e32 v53, 0x3f65296c, v80
	v_fma_f32 v49, 0x3ee437d1, v26, -v54
	v_add_f32_e32 v51, v44, v84
	v_add_f32_e32 v44, v45, v55
	;; [unrolled: 1-line block ×3, first 2 shown]
	v_fmamk_f32 v48, v27, 0x3ee437d1, v53
	v_add_f32_e32 v52, v49, v73
	v_mul_f32_e32 v55, 0xbf763a35, v78
	v_fmac_f32_e32 v54, 0x3ee437d1, v26
	v_fma_f32 v49, 0x3ee437d1, v27, -v53
	v_mul_f32_e32 v57, 0xbf763a35, v80
	v_add_f32_e32 v53, v48, v60
	v_mul_f32_e32 v60, 0x3f7ee86f, v78
	v_add_f32_e32 v46, v46, v58
	v_fma_f32 v56, 0xbe8c1d8e, v26, -v55
	v_add_f32_e32 v48, v54, v61
	v_fmamk_f32 v54, v27, 0xbe8c1d8e, v57
	v_fmac_f32_e32 v55, 0xbe8c1d8e, v26
	v_fma_f32 v58, 0xbe8c1d8e, v27, -v57
	v_fma_f32 v59, 0x3dbcf732, v26, -v60
	v_sub_f32_e32 v159, v3, v65
	v_sub_f32_e32 v103, v2, v64
	v_add_f32_e32 v49, v49, v71
	v_add_f32_e32 v57, v54, v72
	v_mul_f32_e32 v61, 0x3f7ee86f, v80
	v_add_f32_e32 v54, v55, v76
	v_add_f32_e32 v55, v58, v79
	;; [unrolled: 1-line block ×4, first 2 shown]
	v_mul_f32_e32 v71, 0xbeb8f4ab, v159
	v_add_f32_e32 v85, v65, v3
	v_mul_f32_e32 v77, 0xbf2c7751, v103
	v_add_f32_e32 v56, v56, v75
	v_fmamk_f32 v59, v27, 0x3dbcf732, v61
	v_fmac_f32_e32 v60, 0x3dbcf732, v26
	v_fma_f32 v26, 0x3dbcf732, v27, -v61
	v_fmamk_f32 v27, v84, 0x3f6eb680, v71
	v_mul_f32_e32 v72, 0xbeb8f4ab, v103
	v_mul_f32_e32 v76, 0xbf2c7751, v159
	v_fma_f32 v75, 0x3f3d2fb0, v85, -v77
	v_sub_f32_e32 v160, v20, v10
	v_add_f32_e32 v60, v60, v82
	v_add_f32_e32 v61, v26, v83
	v_add_f32_e32 v26, v27, v0
	v_fma_f32 v27, 0x3f6eb680, v85, -v72
	v_fmamk_f32 v73, v84, 0x3f3d2fb0, v76
	v_mul_f32_e32 v82, 0xbf65296c, v103
	v_add_f32_e32 v86, v75, v1
	v_sub_f32_e32 v161, v21, v11
	v_add_f32_e32 v92, v11, v21
	v_mul_f32_e32 v75, 0xbf2c7751, v160
	v_add_f32_e32 v59, v59, v81
	v_mul_f32_e32 v79, 0xbf65296c, v159
	v_add_f32_e32 v27, v27, v1
	v_add_f32_e32 v80, v73, v0
	v_fma_f32 v73, 0x3ee437d1, v85, -v82
	v_add_f32_e32 v91, v10, v20
	v_mul_f32_e32 v81, 0xbf7ee86f, v161
	v_fma_f32 v87, 0x3f3d2fb0, v92, -v75
	v_fmamk_f32 v78, v84, 0x3ee437d1, v79
	v_add_f32_e32 v89, v73, v1
	v_mul_f32_e32 v73, 0xbf2c7751, v161
	v_fmamk_f32 v90, v91, 0x3dbcf732, v81
	v_add_f32_e32 v27, v87, v27
	v_mul_f32_e32 v87, 0xbf4c4adb, v161
	v_add_f32_e32 v88, v78, v0
	v_mul_f32_e32 v83, 0xbf7ee86f, v160
	v_fmamk_f32 v78, v91, 0x3f3d2fb0, v73
	v_add_f32_e32 v95, v90, v80
	v_sub_f32_e32 v163, v23, v9
	v_mul_f32_e32 v96, 0xbf4c4adb, v160
	v_fmamk_f32 v80, v91, 0xbf1a4643, v87
	v_sub_f32_e32 v162, v22, v8
	v_fma_f32 v93, 0x3dbcf732, v92, -v83
	v_add_f32_e32 v26, v78, v26
	v_add_f32_e32 v101, v8, v22
	v_mul_f32_e32 v78, 0xbf65296c, v163
	v_fma_f32 v90, 0xbf1a4643, v92, -v96
	v_add_f32_e32 v88, v80, v88
	v_add_f32_e32 v102, v9, v23
	v_mul_f32_e32 v80, 0xbf65296c, v162
	v_add_f32_e32 v86, v93, v86
	v_fmamk_f32 v93, v101, 0x3ee437d1, v78
	v_add_f32_e32 v97, v90, v89
	v_mul_f32_e32 v89, 0xbf4c4adb, v163
	v_mul_f32_e32 v90, 0xbf4c4adb, v162
	v_fma_f32 v98, 0x3ee437d1, v102, -v80
	v_add_f32_e32 v26, v93, v26
	v_mul_f32_e32 v94, 0x3e3c28d5, v163
	v_fmamk_f32 v93, v101, 0xbf1a4643, v89
	v_fma_f32 v99, 0xbf1a4643, v102, -v90
	v_add_f32_e32 v27, v98, v27
	v_mul_f32_e32 v98, 0x3e3c28d5, v162
	v_fmamk_f32 v100, v101, 0xbf7ba420, v94
	v_add_f32_e32 v93, v93, v95
	v_add_f32_e32 v95, v99, v86
	v_sub_f32_e32 v176, v33, v7
	v_fma_f32 v99, 0xbf7ba420, v102, -v98
	v_sub_f32_e32 v164, v32, v6
	v_add_f32_e32 v100, v100, v88
	v_add_f32_e32 v179, v6, v32
	v_mul_f32_e32 v86, 0xbf7ee86f, v176
	v_add_f32_e32 v144, v99, v97
	v_add_f32_e32 v180, v7, v33
	v_mul_f32_e32 v88, 0xbf7ee86f, v164
	v_mul_f32_e32 v97, 0xbe3c28d5, v176
	;; [unrolled: 1-line block ×3, first 2 shown]
	v_fmamk_f32 v146, v179, 0x3dbcf732, v86
	v_mul_f32_e32 v99, 0xbe3c28d5, v164
	v_fma_f32 v147, 0x3dbcf732, v180, -v88
	v_fmamk_f32 v148, v179, 0xbf7ba420, v97
	v_fmamk_f32 v149, v179, 0xbe8c1d8e, v166
	v_mul_f32_e32 v168, 0x3f763a35, v164
	v_sub_f32_e32 v200, v35, v5
	v_add_f32_e32 v26, v146, v26
	v_fma_f32 v146, 0xbf7ba420, v180, -v99
	v_add_f32_e32 v27, v147, v27
	v_add_f32_e32 v147, v148, v93
	;; [unrolled: 1-line block ×3, first 2 shown]
	v_sub_f32_e32 v199, v34, v4
	v_fma_f32 v149, 0xbe8c1d8e, v180, -v168
	v_add_f32_e32 v188, v4, v34
	v_mul_f32_e32 v93, 0xbf763a35, v200
	v_add_f32_e32 v146, v146, v95
	v_add_f32_e32 v189, v5, v35
	v_mul_f32_e32 v95, 0xbf763a35, v199
	v_add_f32_e32 v144, v149, v144
	v_fmamk_f32 v149, v188, 0xbe8c1d8e, v93
	v_mul_f32_e32 v181, 0x3f2c7751, v200
	v_sub_f32_e32 v202, v29, v15
	v_mul_f32_e32 v177, 0x3f06c442, v199
	v_fma_f32 v150, 0xbe8c1d8e, v189, -v95
	v_add_f32_e32 v26, v149, v26
	v_fmamk_f32 v149, v188, 0x3f3d2fb0, v181
	v_mul_f32_e32 v185, 0x3f2c7751, v199
	v_sub_f32_e32 v201, v28, v14
	v_add_f32_e32 v193, v14, v28
	v_mul_f32_e32 v165, 0xbf4c4adb, v202
	v_sub_f32_e32 v208, v31, v13
	v_fma_f32 v152, 0xbf59a7d5, v189, -v177
	v_add_f32_e32 v27, v150, v27
	v_add_f32_e32 v148, v149, v148
	;; [unrolled: 1-line block ×3, first 2 shown]
	v_fma_f32 v149, 0x3f3d2fb0, v189, -v185
	v_mul_f32_e32 v186, 0x3f763a35, v201
	v_fmamk_f32 v150, v193, 0xbf1a4643, v165
	v_add_f32_e32 v198, v12, v30
	v_mul_f32_e32 v183, 0xbf06c442, v208
	v_mul_f32_e32 v100, 0x3f06c442, v200
	v_add_f32_e32 v146, v152, v146
	v_add_f32_e32 v144, v149, v144
	v_fma_f32 v149, 0xbe8c1d8e, v194, -v186
	v_add_f32_e32 v26, v150, v26
	v_mul_f32_e32 v191, 0xbeb8f4ab, v202
	v_fmamk_f32 v150, v198, 0xbf59a7d5, v183
	v_fmamk_f32 v151, v188, 0xbf59a7d5, v100
	v_mul_f32_e32 v167, 0xbf4c4adb, v201
	v_add_f32_e32 v146, v149, v146
	v_mul_f32_e32 v192, 0xbeb8f4ab, v201
	v_sub_f32_e32 v206, v30, v12
	v_fmamk_f32 v149, v193, 0x3f6eb680, v191
	v_add_f32_e32 v26, v150, v26
	v_mul_lo_u16 v150, v120, 17
	v_add_f32_e32 v147, v151, v147
	v_mul_f32_e32 v178, 0x3f763a35, v202
	v_fma_f32 v151, 0xbf1a4643, v194, -v167
	v_add_f32_e32 v197, v13, v31
	v_mul_f32_e32 v184, 0xbf06c442, v206
	v_add_f32_e32 v148, v149, v148
	v_fma_f32 v149, 0x3f6eb680, v194, -v192
	v_mul_f32_e32 v190, 0x3f65296c, v206
	v_sub_f32_e32 v209, v17, v19
	v_sub_f32_e32 v210, v16, v18
	v_and_b32_e32 v150, 0xffff, v150
	v_fmamk_f32 v152, v193, 0xbe8c1d8e, v178
	v_add_f32_e32 v27, v151, v27
	v_mul_f32_e32 v187, 0x3f65296c, v208
	v_fma_f32 v151, 0xbf59a7d5, v197, -v184
	v_add_f32_e32 v144, v149, v144
	v_fma_f32 v149, 0x3ee437d1, v197, -v190
	v_add_f32_e32 v205, v18, v16
	v_add_f32_e32 v204, v19, v17
	v_mul_f32_e32 v195, 0xbe3c28d5, v209
	v_mul_f32_e32 v196, 0xbe3c28d5, v210
	;; [unrolled: 1-line block ×3, first 2 shown]
	v_lshl_add_u32 v182, v150, 3, v106
	v_mul_f32_e32 v145, 0xbf7ee86f, v159
	v_add_f32_e32 v147, v152, v147
	v_fmamk_f32 v152, v198, 0x3ee437d1, v187
	v_add_f32_e32 v27, v151, v27
	v_add_f32_e32 v146, v149, v146
	v_fmamk_f32 v149, v205, 0xbf7ba420, v195
	v_fma_f32 v150, 0xbf7ba420, v204, -v196
	s_barrier
	buffer_gl0_inv
	ds_write2_b64 v182, v[62:63], v[24:25] offset1:1
	v_mul_f32_e32 v207, 0xbf7ee86f, v206
	v_fmamk_f32 v24, v198, 0x3dbcf732, v203
	v_mul_f32_e32 v62, 0x3eb8f4ab, v209
	ds_write2_b64 v182, v[66:67], v[68:69] offset0:2 offset1:3
	v_mul_f32_e32 v69, 0xbf7ee86f, v103
	v_fma_f32 v143, 0x3dbcf732, v84, -v145
	v_add_f32_e32 v147, v152, v147
	v_add_f32_e32 v26, v149, v26
	;; [unrolled: 1-line block ×3, first 2 shown]
	v_mul_f32_e32 v63, 0x3eb8f4ab, v210
	v_add_f32_e32 v148, v24, v148
	v_fma_f32 v24, 0x3dbcf732, v197, -v207
	v_fmamk_f32 v25, v205, 0x3f6eb680, v62
	v_mul_f32_e32 v149, 0xbe3c28d5, v161
	v_fmamk_f32 v150, v85, 0x3dbcf732, v69
	v_mul_f32_e32 v151, 0xbe3c28d5, v160
	v_fma_f32 v68, 0x3f6eb680, v204, -v63
	v_add_f32_e32 v144, v24, v144
	v_add_f32_e32 v24, v25, v147
	;; [unrolled: 1-line block ×3, first 2 shown]
	v_fma_f32 v147, 0xbf7ba420, v91, -v149
	v_add_f32_e32 v150, v150, v1
	v_fmamk_f32 v152, v92, 0xbf7ba420, v151
	v_mul_f32_e32 v153, 0x3f763a35, v163
	v_mul_f32_e32 v154, 0x3f763a35, v162
	;; [unrolled: 1-line block ×3, first 2 shown]
	v_add_f32_e32 v25, v68, v146
	v_add_f32_e32 v68, v147, v143
	;; [unrolled: 1-line block ×3, first 2 shown]
	v_fma_f32 v146, 0xbe8c1d8e, v101, -v153
	v_fmamk_f32 v147, v102, 0xbe8c1d8e, v154
	v_mul_f32_e32 v150, 0x3eb8f4ab, v176
	v_mul_f32_e32 v152, 0x3eb8f4ab, v164
	v_fmamk_f32 v155, v205, 0xbf59a7d5, v66
	v_add_f32_e32 v68, v146, v68
	v_add_f32_e32 v143, v147, v143
	v_fma_f32 v146, 0x3f6eb680, v179, -v150
	v_fmamk_f32 v147, v180, 0x3f6eb680, v152
	v_mul_f32_e32 v156, 0xbf65296c, v200
	v_mul_f32_e32 v157, 0xbf65296c, v199
	v_fmac_f32_e32 v145, 0x3dbcf732, v84
	v_mul_f32_e32 v67, 0xbf06c442, v210
	v_add_f32_e32 v68, v146, v68
	v_add_f32_e32 v146, v147, v143
	v_fma_f32 v147, 0x3ee437d1, v188, -v156
	v_fmamk_f32 v211, v189, 0x3ee437d1, v157
	v_add_f32_e32 v143, v155, v148
	v_mul_f32_e32 v148, 0xbf06c442, v202
	v_add_f32_e32 v145, v145, v0
	v_fmac_f32_e32 v149, 0xbf7ba420, v91
	v_fma_f32 v69, 0x3dbcf732, v85, -v69
	v_fma_f32 v158, 0xbf59a7d5, v204, -v67
	v_add_f32_e32 v68, v147, v68
	v_add_f32_e32 v146, v211, v146
	v_mul_f32_e32 v155, 0xbf06c442, v201
	v_fma_f32 v147, 0xbf59a7d5, v193, -v148
	v_mul_f32_e32 v211, 0x3f4c4adb, v208
	v_add_f32_e32 v145, v149, v145
	v_add_f32_e32 v69, v69, v1
	v_fma_f32 v149, 0xbf7ba420, v92, -v151
	v_fmac_f32_e32 v153, 0xbe8c1d8e, v101
	v_add_f32_e32 v144, v158, v144
	v_fmamk_f32 v158, v194, 0xbf59a7d5, v155
	v_add_f32_e32 v68, v147, v68
	v_fma_f32 v147, 0xbf1a4643, v198, -v211
	v_add_f32_e32 v69, v149, v69
	v_add_f32_e32 v145, v153, v145
	v_fma_f32 v149, 0xbe8c1d8e, v102, -v154
	v_fmac_f32_e32 v150, 0x3f6eb680, v179
	v_mul_f32_e32 v151, 0x3f4c4adb, v206
	v_mul_f32_e32 v153, 0x3f2c7751, v209
	v_add_f32_e32 v146, v158, v146
	v_add_f32_e32 v68, v147, v68
	;; [unrolled: 1-line block ×4, first 2 shown]
	v_fma_f32 v147, 0x3f6eb680, v180, -v152
	v_fmac_f32_e32 v156, 0x3ee437d1, v188
	v_fmamk_f32 v149, v197, 0xbf1a4643, v151
	v_fma_f32 v150, 0x3f3d2fb0, v205, -v153
	v_mul_f32_e32 v152, 0x3f2c7751, v210
	v_add_f32_e32 v69, v147, v69
	v_add_f32_e32 v145, v156, v145
	v_fma_f32 v154, 0x3ee437d1, v189, -v157
	v_fmac_f32_e32 v148, 0xbf59a7d5, v193
	v_add_f32_e32 v146, v149, v146
	v_add_f32_e32 v147, v150, v68
	v_fmamk_f32 v68, v204, 0x3f3d2fb0, v152
	v_add_f32_e32 v69, v154, v69
	v_add_f32_e32 v145, v148, v145
	v_fma_f32 v149, 0xbf59a7d5, v194, -v155
	v_mul_f32_e32 v150, 0xbf763a35, v159
	v_add_f32_e32 v148, v68, v146
	v_mul_f32_e32 v68, 0xbf763a35, v103
	v_fmac_f32_e32 v211, 0xbf1a4643, v198
	v_add_f32_e32 v69, v149, v69
	v_fma_f32 v146, 0xbe8c1d8e, v84, -v150
	v_mul_f32_e32 v149, 0x3f06c442, v161
	v_fmamk_f32 v154, v85, 0xbe8c1d8e, v68
	v_mul_f32_e32 v155, 0x3f06c442, v160
	v_add_f32_e32 v145, v211, v145
	v_fma_f32 v151, 0xbf1a4643, v197, -v151
	v_add_f32_e32 v146, v146, v0
	v_fma_f32 v156, 0xbf59a7d5, v91, -v149
	v_add_f32_e32 v154, v154, v1
	v_fmamk_f32 v157, v92, 0xbf59a7d5, v155
	v_mul_f32_e32 v158, 0x3f2c7751, v163
	v_mul_f32_e32 v211, 0x3f2c7751, v162
	v_add_f32_e32 v69, v151, v69
	v_add_f32_e32 v146, v156, v146
	v_add_f32_e32 v151, v157, v154
	v_fma_f32 v154, 0x3f3d2fb0, v101, -v158
	v_fmamk_f32 v156, v102, 0x3f3d2fb0, v211
	v_mul_f32_e32 v157, 0xbf65296c, v176
	v_mul_f32_e32 v212, 0xbf65296c, v164
	;; [unrolled: 1-line block ×3, first 2 shown]
	v_add_f32_e32 v146, v154, v146
	v_add_f32_e32 v151, v156, v151
	v_fma_f32 v154, 0x3ee437d1, v179, -v157
	v_fmamk_f32 v156, v180, 0x3ee437d1, v212
	v_mul_f32_e32 v214, 0xbe3c28d5, v199
	v_fma_f32 v152, 0x3f3d2fb0, v204, -v152
	v_fmac_f32_e32 v150, 0xbe8c1d8e, v84
	v_add_f32_e32 v154, v154, v146
	v_add_f32_e32 v151, v156, v151
	v_fma_f32 v156, 0xbf7ba420, v188, -v213
	v_fmamk_f32 v215, v189, 0xbf7ba420, v214
	v_add_f32_e32 v146, v152, v69
	v_mul_f32_e32 v152, 0x3f7ee86f, v202
	v_fmac_f32_e32 v153, 0x3f3d2fb0, v205
	v_add_f32_e32 v69, v156, v154
	v_add_f32_e32 v151, v215, v151
	;; [unrolled: 1-line block ×3, first 2 shown]
	v_fmac_f32_e32 v149, 0xbf59a7d5, v91
	v_fma_f32 v68, 0xbe8c1d8e, v85, -v68
	v_fma_f32 v154, 0x3dbcf732, v193, -v152
	v_mul_f32_e32 v215, 0xbeb8f4ab, v208
	v_add_f32_e32 v145, v153, v145
	v_mul_f32_e32 v153, 0x3f7ee86f, v201
	v_add_f32_e32 v149, v149, v150
	v_add_f32_e32 v68, v68, v1
	v_fma_f32 v150, 0xbf59a7d5, v92, -v155
	v_fmac_f32_e32 v158, 0x3f3d2fb0, v101
	v_add_f32_e32 v69, v154, v69
	v_fma_f32 v154, 0x3f6eb680, v198, -v215
	v_fmamk_f32 v156, v194, 0x3dbcf732, v153
	v_add_f32_e32 v68, v150, v68
	v_add_f32_e32 v149, v158, v149
	v_fma_f32 v150, 0x3f3d2fb0, v102, -v211
	v_fmac_f32_e32 v157, 0x3ee437d1, v179
	v_add_f32_e32 v69, v154, v69
	v_mul_f32_e32 v154, 0xbeb8f4ab, v206
	v_mul_f32_e32 v155, 0xbf4c4adb, v209
	v_add_f32_e32 v151, v156, v151
	v_add_f32_e32 v68, v150, v68
	;; [unrolled: 1-line block ×3, first 2 shown]
	v_fma_f32 v150, 0x3ee437d1, v180, -v212
	v_fmac_f32_e32 v213, 0xbf7ba420, v188
	v_fmamk_f32 v156, v197, 0x3f6eb680, v154
	v_fma_f32 v157, 0xbf1a4643, v205, -v155
	v_mul_f32_e32 v158, 0xbf4c4adb, v210
	v_add_f32_e32 v68, v150, v68
	v_add_f32_e32 v150, v213, v149
	v_fma_f32 v211, 0xbf7ba420, v189, -v214
	v_fmac_f32_e32 v152, 0x3dbcf732, v193
	v_add_f32_e32 v151, v156, v151
	v_add_f32_e32 v149, v157, v69
	v_fmamk_f32 v69, v204, 0xbf1a4643, v158
	v_add_f32_e32 v68, v211, v68
	v_add_f32_e32 v152, v152, v150
	v_fma_f32 v153, 0x3dbcf732, v194, -v153
	v_fmac_f32_e32 v215, 0x3f6eb680, v198
	v_mul_f32_e32 v156, 0xbf4c4adb, v159
	v_add_f32_e32 v150, v69, v151
	v_mul_f32_e32 v69, 0xbf4c4adb, v103
	v_add_f32_e32 v68, v153, v68
	v_add_f32_e32 v151, v215, v152
	v_fma_f32 v152, 0xbf1a4643, v84, -v156
	v_mul_f32_e32 v153, 0x3f763a35, v161
	v_fmamk_f32 v157, v85, 0xbf1a4643, v69
	v_mul_f32_e32 v211, 0x3f763a35, v160
	v_fma_f32 v154, 0x3f6eb680, v197, -v154
	v_add_f32_e32 v152, v152, v0
	v_fma_f32 v212, 0xbe8c1d8e, v91, -v153
	v_add_f32_e32 v157, v157, v1
	v_fmamk_f32 v213, v92, 0xbe8c1d8e, v211
	v_mul_f32_e32 v214, 0xbeb8f4ab, v163
	v_mul_f32_e32 v215, 0xbeb8f4ab, v162
	v_add_f32_e32 v68, v154, v68
	v_add_f32_e32 v152, v212, v152
	;; [unrolled: 1-line block ×3, first 2 shown]
	v_fma_f32 v157, 0x3f6eb680, v101, -v214
	v_fmamk_f32 v212, v102, 0x3f6eb680, v215
	v_mul_f32_e32 v213, 0xbf06c442, v176
	v_mul_f32_e32 v216, 0xbf06c442, v164
	v_fmac_f32_e32 v155, 0xbf1a4643, v205
	v_add_f32_e32 v152, v157, v152
	v_add_f32_e32 v154, v212, v154
	v_fma_f32 v157, 0xbf59a7d5, v179, -v213
	v_fmamk_f32 v212, v180, 0xbf59a7d5, v216
	v_mul_f32_e32 v217, 0x3f7ee86f, v200
	v_mul_f32_e32 v218, 0x3f7ee86f, v199
	v_fma_f32 v158, 0xbf1a4643, v204, -v158
	v_add_f32_e32 v157, v157, v152
	v_add_f32_e32 v154, v212, v154
	v_fma_f32 v212, 0x3dbcf732, v188, -v217
	v_fmamk_f32 v219, v189, 0x3dbcf732, v218
	v_add_f32_e32 v151, v155, v151
	v_fmac_f32_e32 v156, 0xbf1a4643, v84
	v_mul_f32_e32 v155, 0xbf2c7751, v202
	v_add_f32_e32 v152, v158, v68
	v_add_f32_e32 v68, v212, v157
	;; [unrolled: 1-line block ×4, first 2 shown]
	v_fmac_f32_e32 v153, 0xbe8c1d8e, v91
	v_fma_f32 v69, 0xbf1a4643, v85, -v69
	v_fma_f32 v158, 0x3f3d2fb0, v193, -v155
	v_mul_f32_e32 v219, 0xbe3c28d5, v208
	v_mul_f32_e32 v157, 0xbf2c7751, v201
	v_add_f32_e32 v153, v153, v156
	v_add_f32_e32 v69, v69, v1
	v_fma_f32 v156, 0xbe8c1d8e, v92, -v211
	v_fmac_f32_e32 v214, 0x3f6eb680, v101
	v_add_f32_e32 v68, v158, v68
	v_fma_f32 v158, 0xbf7ba420, v198, -v219
	v_fmamk_f32 v212, v194, 0x3f3d2fb0, v157
	v_add_f32_e32 v69, v156, v69
	v_add_f32_e32 v153, v214, v153
	v_fma_f32 v156, 0x3f6eb680, v102, -v215
	v_fmac_f32_e32 v213, 0xbf59a7d5, v179
	v_add_f32_e32 v68, v158, v68
	v_mul_f32_e32 v158, 0xbe3c28d5, v206
	v_mul_f32_e32 v211, 0x3f65296c, v209
	v_add_f32_e32 v154, v212, v154
	v_add_f32_e32 v69, v156, v69
	;; [unrolled: 1-line block ×3, first 2 shown]
	v_fma_f32 v156, 0xbf59a7d5, v180, -v216
	v_fmac_f32_e32 v217, 0x3dbcf732, v188
	v_fmamk_f32 v212, v197, 0xbf7ba420, v158
	v_fma_f32 v213, 0x3ee437d1, v205, -v211
	v_mul_f32_e32 v214, 0x3f65296c, v210
	v_add_f32_e32 v69, v156, v69
	v_add_f32_e32 v156, v217, v153
	v_fma_f32 v215, 0x3dbcf732, v189, -v218
	v_fmac_f32_e32 v155, 0x3f3d2fb0, v193
	v_add_f32_e32 v154, v212, v154
	v_add_f32_e32 v153, v213, v68
	v_fmamk_f32 v68, v204, 0x3ee437d1, v214
	v_add_f32_e32 v69, v215, v69
	v_add_f32_e32 v155, v155, v156
	v_fma_f32 v156, 0x3f3d2fb0, v194, -v157
	v_mul_f32_e32 v157, 0xbf06c442, v159
	v_add_f32_e32 v154, v68, v154
	v_mul_f32_e32 v68, 0xbf06c442, v103
	v_mul_f32_e32 v212, 0x3f65296c, v161
	v_add_f32_e32 v69, v156, v69
	v_fma_f32 v156, 0xbf59a7d5, v84, -v157
	v_mul_f32_e32 v215, 0x3f65296c, v160
	v_fmamk_f32 v213, v85, 0xbf59a7d5, v68
	v_fma_f32 v158, 0xbf7ba420, v197, -v158
	v_fma_f32 v216, 0x3ee437d1, v91, -v212
	v_add_f32_e32 v156, v156, v0
	v_fmamk_f32 v217, v92, 0x3ee437d1, v215
	v_add_f32_e32 v213, v213, v1
	v_mul_f32_e32 v218, 0xbf7ee86f, v163
	v_add_f32_e32 v69, v158, v69
	v_add_f32_e32 v156, v216, v156
	v_fmac_f32_e32 v219, 0xbf7ba420, v198
	v_add_f32_e32 v158, v217, v213
	v_fma_f32 v213, 0x3dbcf732, v101, -v218
	v_mul_f32_e32 v217, 0x3f4c4adb, v176
	v_mul_f32_e32 v221, 0xbeb8f4ab, v200
	v_fmac_f32_e32 v157, 0xbf59a7d5, v84
	v_add_f32_e32 v155, v219, v155
	v_add_f32_e32 v156, v213, v156
	v_fma_f32 v213, 0xbf1a4643, v179, -v217
	v_mul_f32_e32 v219, 0xbf7ee86f, v162
	v_fmac_f32_e32 v211, 0x3ee437d1, v205
	v_mul_f32_e32 v223, 0xbe3c28d5, v202
	v_add_f32_e32 v157, v157, v0
	v_add_f32_e32 v156, v213, v156
	v_fma_f32 v213, 0x3f6eb680, v188, -v221
	v_fmac_f32_e32 v212, 0x3ee437d1, v91
	v_fmamk_f32 v216, v102, 0x3dbcf732, v219
	v_mul_f32_e32 v220, 0x3f4c4adb, v164
	v_fma_f32 v214, 0x3ee437d1, v204, -v214
	v_add_f32_e32 v155, v211, v155
	v_add_f32_e32 v211, v213, v156
	v_fma_f32 v213, 0xbf7ba420, v193, -v223
	v_fma_f32 v68, 0xbf59a7d5, v85, -v68
	v_add_f32_e32 v157, v212, v157
	v_fmac_f32_e32 v218, 0x3dbcf732, v101
	v_add_f32_e32 v158, v216, v158
	v_fmamk_f32 v216, v180, 0xbf1a4643, v220
	v_mul_f32_e32 v222, 0xbeb8f4ab, v199
	v_add_f32_e32 v156, v214, v69
	v_add_f32_e32 v69, v213, v211
	;; [unrolled: 1-line block ×3, first 2 shown]
	v_fma_f32 v211, 0x3ee437d1, v92, -v215
	v_mul_f32_e32 v213, 0x3f2c7751, v208
	v_add_f32_e32 v157, v218, v157
	v_fmac_f32_e32 v217, 0xbf1a4643, v179
	v_add_f32_e32 v158, v216, v158
	v_fmamk_f32 v216, v189, 0x3f6eb680, v222
	v_mul_f32_e32 v224, 0xbe3c28d5, v201
	v_add_f32_e32 v68, v211, v68
	v_fma_f32 v211, 0x3dbcf732, v102, -v219
	v_fma_f32 v212, 0x3f3d2fb0, v198, -v213
	v_add_f32_e32 v157, v217, v157
	v_fmac_f32_e32 v221, 0x3f6eb680, v188
	v_add_f32_e32 v158, v216, v158
	v_fmamk_f32 v216, v194, 0xbf7ba420, v224
	v_add_f32_e32 v68, v211, v68
	v_fma_f32 v211, 0xbf1a4643, v180, -v220
	v_add_f32_e32 v69, v212, v69
	v_mul_f32_e32 v212, 0xbf763a35, v209
	v_add_f32_e32 v157, v221, v157
	v_fmac_f32_e32 v223, 0xbf7ba420, v193
	v_add_f32_e32 v158, v216, v158
	v_mul_f32_e32 v214, 0x3f2c7751, v206
	v_add_f32_e32 v68, v211, v68
	v_fma_f32 v211, 0x3f6eb680, v189, -v222
	v_fma_f32 v216, 0xbe8c1d8e, v205, -v212
	v_add_f32_e32 v218, v223, v157
	v_fmac_f32_e32 v213, 0x3f3d2fb0, v198
	v_fmamk_f32 v215, v197, 0x3f3d2fb0, v214
	v_add_f32_e32 v68, v211, v68
	v_fma_f32 v211, 0xbf7ba420, v194, -v224
	v_add_f32_e32 v157, v216, v69
	v_add_f32_e32 v69, v213, v218
	v_mul_f32_e32 v213, 0xbe3c28d5, v159
	v_fmac_f32_e32 v212, 0xbe8c1d8e, v205
	v_mul_f32_e32 v103, 0xbe3c28d5, v103
	v_add_f32_e32 v158, v215, v158
	v_mul_f32_e32 v215, 0xbf763a35, v210
	v_add_f32_e32 v68, v211, v68
	v_fma_f32 v211, 0x3f3d2fb0, v197, -v214
	v_fma_f32 v214, 0xbf7ba420, v84, -v213
	v_mul_f32_e32 v161, 0x3eb8f4ab, v161
	v_add_f32_e32 v159, v212, v69
	v_fmamk_f32 v69, v85, 0xbf7ba420, v103
	v_mul_f32_e32 v212, 0x3eb8f4ab, v160
	v_fmamk_f32 v217, v204, 0xbe8c1d8e, v215
	v_add_f32_e32 v68, v211, v68
	v_fma_f32 v211, 0xbe8c1d8e, v204, -v215
	v_add_f32_e32 v160, v214, v0
	v_fma_f32 v214, 0x3f6eb680, v91, -v161
	v_mul_f32_e32 v163, 0xbf06c442, v163
	v_add_f32_e32 v69, v69, v1
	v_fmamk_f32 v215, v92, 0x3f6eb680, v212
	v_mul_f32_e32 v162, 0xbf06c442, v162
	v_add_f32_e32 v160, v214, v160
	v_fma_f32 v214, 0xbf59a7d5, v101, -v163
	v_mul_f32_e32 v176, 0x3f2c7751, v176
	v_add_f32_e32 v69, v215, v69
	v_fmamk_f32 v215, v102, 0xbf59a7d5, v162
	v_mul_f32_e32 v164, 0x3f2c7751, v164
	;; [unrolled: 6-line block ×3, first 2 shown]
	v_add_f32_e32 v214, v214, v160
	v_fma_f32 v216, 0xbf1a4643, v188, -v200
	v_add_f32_e32 v160, v211, v68
	v_add_f32_e32 v68, v215, v69
	v_fmamk_f32 v69, v189, 0xbf1a4643, v199
	v_mul_f32_e32 v202, 0x3f65296c, v202
	v_add_f32_e32 v211, v216, v214
	v_fmac_f32_e32 v213, 0xbf7ba420, v84
	v_fma_f32 v103, 0xbf7ba420, v85, -v103
	v_add_f32_e32 v68, v69, v68
	v_fma_f32 v69, 0x3ee437d1, v193, -v202
	v_fmac_f32_e32 v161, 0x3f6eb680, v91
	v_add_f32_e32 v213, v213, v0
	v_add_f32_e32 v103, v103, v1
	v_mul_f32_e32 v201, 0x3f65296c, v201
	v_add_f32_e32 v69, v69, v211
	v_fma_f32 v211, 0x3f6eb680, v92, -v212
	v_add_f32_e32 v161, v161, v213
	v_fmac_f32_e32 v163, 0xbf59a7d5, v101
	v_fma_f32 v162, 0xbf59a7d5, v102, -v162
	v_fmamk_f32 v214, v194, 0x3ee437d1, v201
	v_add_f32_e32 v103, v211, v103
	v_mul_f32_e32 v206, 0xbf763a35, v206
	v_add_f32_e32 v161, v163, v161
	v_fmac_f32_e32 v176, 0x3f3d2fb0, v179
	v_add_f32_e32 v68, v214, v68
	v_add_f32_e32 v103, v162, v103
	v_fma_f32 v162, 0x3f3d2fb0, v180, -v164
	v_mul_f32_e32 v208, 0xbf763a35, v208
	v_fmamk_f32 v164, v197, 0xbe8c1d8e, v206
	v_add_f32_e32 v161, v176, v161
	v_fmac_f32_e32 v200, 0xbf1a4643, v188
	v_add_f32_e32 v103, v162, v103
	v_fma_f32 v162, 0xbf1a4643, v189, -v199
	v_fma_f32 v163, 0xbe8c1d8e, v198, -v208
	v_add_f32_e32 v68, v164, v68
	v_add_f32_e32 v161, v200, v161
	v_fmac_f32_e32 v202, 0x3ee437d1, v193
	v_mul_f32_e32 v176, 0x3f7ee86f, v209
	v_add_f32_e32 v103, v162, v103
	v_fma_f32 v162, 0x3ee437d1, v194, -v201
	v_mul_f32_e32 v164, 0x3f7ee86f, v210
	v_add_f32_e32 v69, v163, v69
	v_add_f32_e32 v161, v202, v161
	v_fmac_f32_e32 v208, 0xbe8c1d8e, v198
	v_fma_f32 v163, 0x3dbcf732, v205, -v176
	v_add_f32_e32 v103, v162, v103
	v_fma_f32 v162, 0xbe8c1d8e, v197, -v206
	v_fmamk_f32 v199, v204, 0x3dbcf732, v164
	v_add_f32_e32 v161, v208, v161
	v_fmac_f32_e32 v176, 0x3dbcf732, v205
	v_add_f32_e32 v163, v163, v69
	v_add_f32_e32 v69, v162, v103
	v_fma_f32 v103, 0x3dbcf732, v204, -v164
	v_add_f32_e32 v164, v199, v68
	v_add_co_u32 v68, null, v120, 17
	v_add_f32_e32 v158, v217, v158
	v_add_f32_e32 v161, v176, v161
	;; [unrolled: 1-line block ×3, first 2 shown]
	v_mul_u32_u24_e32 v107, 17, v68
	ds_write2_b64 v182, v[46:47], v[50:51] offset0:4 offset1:5
	ds_write2_b64 v182, v[52:53], v[56:57] offset0:6 offset1:7
	;; [unrolled: 1-line block ×6, first 2 shown]
	ds_write_b64 v182, v[36:37] offset:128
	s_and_saveexec_b32 s2, vcc_lo
	s_cbranch_execz .LBB0_7
; %bb.6:
	v_mul_f32_e32 v40, 0x3ee437d1, v84
	v_mul_f32_e32 v46, 0xbf1a4643, v91
	;; [unrolled: 1-line block ×5, first 2 shown]
	v_sub_f32_e32 v40, v40, v79
	v_sub_f32_e32 v46, v46, v87
	v_mul_f32_e32 v38, 0x3f6eb680, v84
	v_mul_f32_e32 v36, 0x3f3d2fb0, v84
	;; [unrolled: 1-line block ×3, first 2 shown]
	v_add_f32_e32 v40, v40, v0
	v_mul_f32_e32 v47, 0xbf1a4643, v92
	v_mul_f32_e32 v84, 0x3f3d2fb0, v188
	v_add_f32_e32 v37, v77, v37
	v_mul_f32_e32 v51, 0xbf1a4643, v102
	v_add_f32_e32 v40, v46, v40
	v_sub_f32_e32 v46, v52, v94
	v_add_f32_e32 v47, v96, v47
	v_mul_f32_e32 v96, 0x3f6eb680, v193
	v_add_f32_e32 v37, v37, v1
	v_add_f32_e32 v45, v83, v45
	;; [unrolled: 1-line block ×3, first 2 shown]
	v_sub_f32_e32 v46, v58, v166
	v_mul_f32_e32 v41, 0x3ee437d1, v85
	v_mul_f32_e32 v44, 0x3dbcf732, v91
	;; [unrolled: 1-line block ×4, first 2 shown]
	v_add_f32_e32 v40, v46, v40
	v_sub_f32_e32 v46, v84, v181
	v_sub_f32_e32 v36, v36, v76
	v_add_f32_e32 v37, v45, v37
	v_add_f32_e32 v45, v90, v51
	v_mul_f32_e32 v50, 0xbf1a4643, v101
	v_add_f32_e32 v40, v46, v40
	v_sub_f32_e32 v46, v96, v191
	v_mul_f32_e32 v69, 0xbf59a7d5, v189
	v_add_f32_e32 v41, v82, v41
	v_mul_f32_e32 v58, 0xbf59a7d5, v205
	v_add_f32_e32 v36, v36, v0
	v_add_f32_e32 v40, v46, v40
	v_sub_f32_e32 v46, v79, v203
	v_sub_f32_e32 v44, v44, v81
	v_add_f32_e32 v37, v45, v37
	v_add_f32_e32 v45, v99, v57
	v_mul_f32_e32 v48, 0x3ee437d1, v101
	v_mul_f32_e32 v53, 0xbf7ba420, v102
	;; [unrolled: 1-line block ×3, first 2 shown]
	v_add_f32_e32 v41, v41, v1
	v_add_f32_e32 v40, v46, v40
	v_sub_f32_e32 v46, v58, v66
	v_add_f32_e32 v44, v44, v36
	v_sub_f32_e32 v50, v50, v89
	v_add_f32_e32 v45, v45, v37
	v_add_f32_e32 v51, v177, v69
	;; [unrolled: 1-line block ×6, first 2 shown]
	v_mul_f32_e32 v98, 0x3ee437d1, v197
	v_add_f32_e32 v36, v46, v40
	v_add_f32_e32 v40, v50, v44
	;; [unrolled: 1-line block ×6, first 2 shown]
	v_mul_f32_e32 v94, 0x3f6eb680, v204
	v_add_f32_e32 v20, v190, v98
	v_add_f32_e32 v44, v45, v44
	;; [unrolled: 1-line block ×4, first 2 shown]
	v_mul_f32_e32 v39, 0x3f6eb680, v85
	v_add_f32_e32 v22, v63, v94
	v_add_f32_e32 v20, v20, v44
	v_add_f32_e32 v3, v33, v3
	v_add_f32_e32 v23, v32, v2
	v_mul_f32_e32 v59, 0xbe8c1d8e, v180
	v_mul_f32_e32 v85, 0x3f3d2fb0, v189
	v_add_f32_e32 v2, v22, v20
	v_add_f32_e32 v20, v72, v39
	;; [unrolled: 1-line block ×9, first 2 shown]
	v_mul_f32_e32 v49, 0x3ee437d1, v102
	v_mul_f32_e32 v102, 0x3f6eb680, v194
	v_add_f32_e32 v41, v47, v41
	v_add_f32_e32 v3, v31, v3
	;; [unrolled: 1-line block ×4, first 2 shown]
	v_mul_f32_e32 v42, 0x3f3d2fb0, v91
	v_mul_f32_e32 v43, 0x3f3d2fb0, v92
	v_sub_f32_e32 v23, v38, v71
	v_add_f32_e32 v3, v17, v3
	v_add_f32_e32 v16, v16, v20
	v_mul_f32_e32 v59, 0x3dbcf732, v197
	v_add_f32_e32 v41, v47, v41
	v_add_f32_e32 v47, v192, v102
	;; [unrolled: 1-line block ×4, first 2 shown]
	v_sub_f32_e32 v23, v42, v73
	v_add_f32_e32 v3, v19, v3
	v_add_f32_e32 v16, v18, v16
	;; [unrolled: 1-line block ×4, first 2 shown]
	v_mul_f32_e32 v59, 0xbf59a7d5, v204
	v_mul_f32_e32 v54, 0x3dbcf732, v179
	;; [unrolled: 1-line block ×3, first 2 shown]
	v_add_f32_e32 v1, v22, v1
	v_add_f32_e32 v22, v80, v49
	v_add_f32_e32 v0, v23, v0
	v_sub_f32_e32 v17, v48, v78
	v_add_f32_e32 v3, v13, v3
	v_add_f32_e32 v12, v12, v16
	v_mul_f32_e32 v56, 0xbf7ba420, v179
	v_add_f32_e32 v41, v47, v41
	v_add_f32_e32 v47, v67, v59
	v_mul_f32_e32 v60, 0xbe8c1d8e, v188
	v_mul_f32_e32 v61, 0xbe8c1d8e, v189
	v_add_f32_e32 v1, v22, v1
	v_add_f32_e32 v20, v88, v55
	v_add_f32_e32 v0, v17, v0
	v_sub_f32_e32 v17, v54, v86
	v_add_f32_e32 v3, v15, v3
	v_add_f32_e32 v12, v14, v12
	v_mul_f32_e32 v68, 0xbf59a7d5, v188
	v_add_f32_e32 v37, v47, v41
	v_sub_f32_e32 v41, v56, v97
	v_mul_f32_e32 v82, 0xbf1a4643, v193
	v_mul_f32_e32 v91, 0xbf1a4643, v194
	v_add_f32_e32 v1, v20, v1
	v_add_f32_e32 v13, v95, v61
	v_add_f32_e32 v0, v17, v0
	v_sub_f32_e32 v16, v60, v93
	v_add_f32_e32 v3, v5, v3
	v_add_f32_e32 v4, v4, v12
	v_mul_f32_e32 v92, 0xbe8c1d8e, v193
	v_add_f32_e32 v40, v41, v40
	v_sub_f32_e32 v41, v68, v100
	;; [unrolled: 11-line block ×4, first 2 shown]
	v_add_f32_e32 v1, v12, v1
	v_add_f32_e32 v6, v196, v85
	;; [unrolled: 1-line block ×3, first 2 shown]
	v_sub_f32_e32 v5, v87, v195
	v_add_f32_e32 v7, v11, v3
	v_add_f32_e32 v8, v10, v4
	;; [unrolled: 1-line block ×3, first 2 shown]
	v_sub_f32_e32 v9, v52, v62
	v_add_f32_e32 v4, v6, v1
	v_add_f32_e32 v3, v5, v0
	;; [unrolled: 1-line block ×4, first 2 shown]
	v_lshl_add_u32 v0, v107, 3, v106
	v_add_f32_e32 v1, v9, v21
	ds_write2_b64 v0, v[5:6], v[3:4] offset1:1
	ds_write2_b64 v0, v[1:2], v[36:37] offset0:2 offset1:3
	ds_write2_b64 v0, v[147:148], v[149:150] offset0:4 offset1:5
	;; [unrolled: 1-line block ×7, first 2 shown]
	ds_write_b64 v0, v[26:27] offset:128
.LBB0_7:
	s_or_b32 exec_lo, exec_lo, s2
	v_add_nc_u16 v4, v120, 34
	v_add_nc_u16 v5, v120, 51
	;; [unrolled: 1-line block ×5, first 2 shown]
	v_and_b32_e32 v6, 0xff, v4
	v_and_b32_e32 v8, 0xff, v5
	;; [unrolled: 1-line block ×5, first 2 shown]
	v_mul_lo_u16 v6, 0xf1, v6
	v_mul_lo_u16 v8, 0xf1, v8
	;; [unrolled: 1-line block ×4, first 2 shown]
	v_lshlrev_b32_e32 v0, 4, v120
	v_lshrrev_b16 v6, 12, v6
	v_lshrrev_b16 v8, 12, v8
	;; [unrolled: 1-line block ×3, first 2 shown]
	s_waitcnt lgkmcnt(0)
	s_barrier
	v_mul_lo_u16 v6, v6, 17
	v_mul_lo_u16 v8, v8, 17
	buffer_gl0_inv
	global_load_dwordx4 v[0:3], v0, s[0:1]
	v_mul_lo_u16 v10, v10, 17
	v_sub_nc_u16 v73, v4, v6
	v_mul_lo_u16 v4, 0xf1, v13
	v_lshrrev_b16 v6, 12, v12
	v_sub_nc_u16 v75, v5, v8
	v_sub_nc_u16 v76, v7, v10
	v_lshlrev_b16 v5, 1, v73
	v_lshrrev_b16 v4, 12, v4
	v_mul_lo_u16 v6, v6, 17
	v_lshlrev_b16 v7, 1, v75
	v_add_nc_u32_e32 v96, 0x800, v169
	v_and_b32_e32 v5, 0xfe, v5
	v_mul_lo_u16 v4, v4, 17
	v_sub_nc_u16 v77, v9, v6
	v_lshlrev_b16 v6, 1, v76
	v_and_b32_e32 v7, 0xfe, v7
	v_lshlrev_b32_e32 v5, 3, v5
	v_sub_nc_u16 v78, v11, v4
	v_lshlrev_b16 v4, 1, v77
	v_and_b32_e32 v6, 0xfe, v6
	v_lshlrev_b32_e32 v7, 3, v7
	global_load_dwordx4 v[20:23], v5, s[0:1]
	v_lshlrev_b16 v5, 1, v78
	v_and_b32_e32 v4, 0xfe, v4
	v_lshlrev_b32_e32 v6, 3, v6
	global_load_dwordx4 v[16:19], v7, s[0:1]
	v_and_b32_e32 v77, 0xff, v77
	v_and_b32_e32 v5, 0xfe, v5
	v_lshlrev_b32_e32 v4, 3, v4
	global_load_dwordx4 v[12:15], v6, s[0:1]
	v_and_b32_e32 v78, 0xff, v78
	v_and_b32_e32 v76, 0xff, v76
	v_lshlrev_b32_e32 v5, 3, v5
	v_lshl_add_u32 v142, v77, 3, v106
	v_and_b32_e32 v73, 0xff, v73
	s_clause 0x1
	global_load_dwordx4 v[8:11], v4, s[0:1]
	global_load_dwordx4 v[4:7], v5, s[0:1]
	ds_read2_b64 v[28:31], v169 offset1:17
	ds_read2_b64 v[32:35], v169 offset0:102 offset1:119
	ds_read2_b64 v[36:39], v169 offset0:238 offset1:255
	;; [unrolled: 1-line block ×4, first 2 shown]
	v_lshl_add_u32 v123, v78, 3, v106
	v_lshl_add_u32 v176, v76, 3, v106
	ds_read2_b64 v[48:51], v169 offset0:170 offset1:187
	ds_read2_b64 v[52:55], v169 offset0:68 offset1:85
	;; [unrolled: 1-line block ×3, first 2 shown]
	ds_read_b64 v[68:69], v169 offset:2720
	ds_read2_b64 v[60:63], v96 offset0:16 offset1:33
	ds_read2_b64 v[64:67], v96 offset0:50 offset1:67
	s_waitcnt vmcnt(0) lgkmcnt(0)
	s_barrier
	buffer_gl0_inv
	v_mad_u64_u32 v[71:72], null, v120, 48, s[0:1]
	v_and_b32_e32 v75, 0xff, v75
	v_lshl_add_u32 v178, v73, 3, v106
	v_add_nc_u32_e32 v73, 0x400, v142
	v_lshl_add_u32 v183, v70, 3, v74
	s_add_u32 s2, s6, 0xb28
	v_lshl_add_u32 v177, v75, 3, v106
	v_add_nc_u32_e32 v75, 0x800, v123
	s_addc_u32 s3, s7, 0
	v_mul_f32_e32 v76, v35, v1
	v_mul_f32_e32 v77, v34, v1
	;; [unrolled: 1-line block ×8, first 2 shown]
	v_fma_f32 v34, v34, v0, -v76
	v_fmac_f32_e32 v77, v35, v0
	v_fma_f32 v35, v36, v2, -v78
	v_fmac_f32_e32 v79, v37, v2
	;; [unrolled: 2-line block ×4, first 2 shown]
	v_add_f32_e32 v39, v34, v35
	v_add_f32_e32 v76, v77, v79
	;; [unrolled: 1-line block ×4, first 2 shown]
	v_sub_f32_e32 v82, v81, v83
	v_add_f32_e32 v81, v81, v83
	v_add_f32_e32 v38, v28, v34
	v_sub_f32_e32 v40, v77, v79
	v_add_f32_e32 v41, v29, v77
	v_sub_f32_e32 v77, v34, v35
	v_fma_f32 v28, -0.5, v39, v28
	v_fma_f32 v29, -0.5, v76, v29
	v_add_f32_e32 v78, v30, v36
	v_sub_f32_e32 v85, v36, v37
	v_fma_f32 v30, -0.5, v80, v30
	v_fmac_f32_e32 v31, -0.5, v81
	v_add_f32_e32 v34, v38, v35
	v_add_f32_e32 v35, v41, v79
	v_fmamk_f32 v38, v40, 0x3f5db3d7, v28
	v_fmamk_f32 v39, v77, 0xbf5db3d7, v29
	v_add_f32_e32 v36, v78, v37
	v_add_f32_e32 v37, v84, v83
	v_fmac_f32_e32 v28, 0xbf5db3d7, v40
	v_fmac_f32_e32 v29, 0x3f5db3d7, v77
	v_fmamk_f32 v40, v82, 0x3f5db3d7, v30
	v_fmac_f32_e32 v30, 0xbf5db3d7, v82
	v_fmamk_f32 v41, v85, 0xbf5db3d7, v31
	v_fmac_f32_e32 v31, 0x3f5db3d7, v85
	ds_write2_b64 v169, v[34:35], v[38:39] offset1:17
	ds_write2_b64 v169, v[28:29], v[36:37] offset0:34 offset1:51
	ds_write2_b64 v169, v[40:41], v[30:31] offset0:68 offset1:85
	v_mul_f32_e32 v28, v43, v21
	v_mul_f32_e32 v29, v42, v21
	;; [unrolled: 1-line block ×20, first 2 shown]
	v_fma_f32 v28, v42, v20, -v28
	v_fmac_f32_e32 v29, v43, v20
	v_fma_f32 v30, v60, v22, -v30
	v_fmac_f32_e32 v31, v61, v22
	;; [unrolled: 2-line block ×10, first 2 shown]
	v_add_f32_e32 v50, v44, v28
	v_add_f32_e32 v51, v28, v30
	v_add_f32_e32 v57, v45, v29
	v_add_f32_e32 v58, v29, v31
	v_add_f32_e32 v61, v34, v36
	v_add_f32_e32 v64, v35, v37
	v_add_f32_e32 v67, v38, v40
	v_sub_f32_e32 v68, v39, v41
	v_add_f32_e32 v69, v53, v39
	v_add_f32_e32 v39, v39, v41
	;; [unrolled: 1-line block ×3, first 2 shown]
	v_sub_f32_e32 v82, v77, v79
	v_add_f32_e32 v84, v55, v77
	v_add_f32_e32 v77, v77, v79
	;; [unrolled: 1-line block ×3, first 2 shown]
	v_sub_f32_e32 v87, v81, v83
	v_add_f32_e32 v88, v33, v81
	v_add_f32_e32 v81, v81, v83
	v_sub_f32_e32 v56, v29, v31
	v_sub_f32_e32 v59, v28, v30
	v_add_f32_e32 v28, v50, v30
	v_fma_f32 v30, -0.5, v51, v44
	v_add_f32_e32 v29, v57, v31
	v_fma_f32 v31, -0.5, v58, v45
	v_add_f32_e32 v60, v46, v34
	v_sub_f32_e32 v62, v35, v37
	v_add_f32_e32 v63, v47, v35
	v_sub_f32_e32 v65, v34, v36
	;; [unrolled: 2-line block ×3, first 2 shown]
	v_add_f32_e32 v42, v32, v48
	v_fma_f32 v46, -0.5, v61, v46
	v_fmac_f32_e32 v47, -0.5, v64
	v_add_f32_e32 v66, v52, v38
	v_sub_f32_e32 v76, v38, v40
	v_sub_f32_e32 v89, v48, v49
	v_fma_f32 v38, -0.5, v67, v52
	v_fma_f32 v39, -0.5, v39, v53
	;; [unrolled: 1-line block ×3, first 2 shown]
	v_fmac_f32_e32 v55, -0.5, v77
	v_fma_f32 v32, -0.5, v86, v32
	v_fmac_f32_e32 v33, -0.5, v81
	v_fmamk_f32 v44, v56, 0x3f5db3d7, v30
	v_fmamk_f32 v45, v59, 0xbf5db3d7, v31
	v_fmac_f32_e32 v30, 0xbf5db3d7, v56
	v_fmac_f32_e32 v31, 0x3f5db3d7, v59
	v_add_f32_e32 v34, v60, v36
	v_add_f32_e32 v35, v63, v37
	;; [unrolled: 1-line block ×3, first 2 shown]
	v_fmamk_f32 v48, v62, 0x3f5db3d7, v46
	v_fmamk_f32 v49, v65, 0xbf5db3d7, v47
	v_fmac_f32_e32 v46, 0xbf5db3d7, v62
	v_fmac_f32_e32 v47, 0x3f5db3d7, v65
	v_add_f32_e32 v36, v66, v40
	v_add_f32_e32 v37, v69, v41
	;; [unrolled: 1-line block ×5, first 2 shown]
	v_fmamk_f32 v50, v68, 0x3f5db3d7, v38
	v_fmac_f32_e32 v38, 0xbf5db3d7, v68
	v_fmamk_f32 v51, v76, 0xbf5db3d7, v39
	v_fmac_f32_e32 v39, 0x3f5db3d7, v76
	;; [unrolled: 2-line block ×6, first 2 shown]
	ds_write2_b64 v178, v[28:29], v[44:45] offset0:102 offset1:119
	ds_write_b64 v178, v[30:31] offset:1088
	ds_write2_b64 v177, v[34:35], v[48:49] offset0:153 offset1:170
	ds_write_b64 v177, v[46:47] offset:1496
	;; [unrolled: 2-line block ×5, first 2 shown]
	s_waitcnt lgkmcnt(0)
	s_barrier
	buffer_gl0_inv
	s_clause 0x8
	global_load_dwordx4 v[56:59], v[71:72], off offset:272
	global_load_dwordx4 v[44:47], v[71:72], off offset:288
	;; [unrolled: 1-line block ×9, first 2 shown]
	ds_read2_b64 v[64:67], v169 offset0:34 offset1:51
	ds_read2_b64 v[75:78], v169 offset0:102 offset1:119
	;; [unrolled: 1-line block ×8, first 2 shown]
	ds_read2_b64 v[184:187], v169 offset1:17
	ds_read2_b64 v[188:191], v96 offset0:16 offset1:33
	ds_read_b64 v[72:73], v169 offset:2720
	v_add_nc_u32_e32 v88, 0x400, v169
	v_add_nc_u32_e32 v87, 0x800, v183
	s_waitcnt vmcnt(8) lgkmcnt(10)
	v_mul_f32_e32 v93, v67, v57
	v_mul_f32_e32 v94, v66, v57
	s_waitcnt lgkmcnt(9)
	v_mul_f32_e32 v95, v76, v59
	v_mul_f32_e32 v101, v75, v59
	s_waitcnt vmcnt(7) lgkmcnt(8)
	v_mul_f32_e32 v102, v82, v45
	s_waitcnt vmcnt(6) lgkmcnt(6)
	v_mul_f32_e32 v194, v92, v29
	v_mul_f32_e32 v195, v91, v29
	s_waitcnt lgkmcnt(5)
	v_mul_f32_e32 v196, v69, v31
	v_mul_f32_e32 v197, v68, v31
	v_mul_f32_e32 v103, v81, v45
	v_mul_f32_e32 v192, v84, v47
	v_mul_f32_e32 v193, v83, v47
	s_waitcnt vmcnt(5) lgkmcnt(4)
	v_mul_f32_e32 v198, v98, v61
	v_mul_f32_e32 v199, v97, v61
	v_mul_f32_e32 v200, v78, v63
	v_mul_f32_e32 v201, v77, v63
	s_waitcnt vmcnt(4) lgkmcnt(3)
	v_mul_f32_e32 v202, v166, v49
	v_mul_f32_e32 v203, v165, v49
	v_mul_f32_e32 v204, v86, v51
	v_mul_f32_e32 v205, v85, v51
	;; [unrolled: 5-line block ×3, first 2 shown]
	s_waitcnt vmcnt(2)
	v_mul_f32_e32 v210, v100, v53
	v_mul_f32_e32 v211, v99, v53
	;; [unrolled: 1-line block ×4, first 2 shown]
	s_waitcnt vmcnt(1)
	v_mul_f32_e32 v214, v168, v41
	v_mul_f32_e32 v215, v167, v41
	v_mul_f32_e32 v216, v90, v43
	v_mul_f32_e32 v217, v89, v43
	s_waitcnt vmcnt(0)
	v_mul_f32_e32 v218, v191, v37
	v_mul_f32_e32 v219, v190, v37
	s_waitcnt lgkmcnt(0)
	v_mul_f32_e32 v220, v73, v39
	v_mul_f32_e32 v221, v72, v39
	v_fma_f32 v66, v66, v56, -v93
	v_fmac_f32_e32 v94, v67, v56
	v_fma_f32 v67, v75, v58, -v95
	v_fmac_f32_e32 v101, v76, v58
	v_fma_f32 v75, v81, v44, -v102
	v_fma_f32 v81, v91, v28, -v194
	v_fmac_f32_e32 v195, v92, v28
	v_fma_f32 v68, v68, v30, -v196
	v_fmac_f32_e32 v197, v69, v30
	v_fmac_f32_e32 v103, v82, v44
	v_fma_f32 v76, v83, v46, -v192
	v_fmac_f32_e32 v193, v84, v46
	v_fma_f32 v69, v97, v60, -v198
	;; [unrolled: 2-line block ×13, first 2 shown]
	v_fmac_f32_e32 v221, v73, v38
	v_add_f32_e32 v73, v66, v68
	v_add_f32_e32 v86, v94, v197
	;; [unrolled: 1-line block ×4, first 2 shown]
	v_sub_f32_e32 v66, v66, v68
	v_sub_f32_e32 v68, v94, v197
	;; [unrolled: 1-line block ×4, first 2 shown]
	v_add_f32_e32 v91, v75, v76
	v_add_f32_e32 v92, v103, v193
	v_sub_f32_e32 v75, v76, v75
	v_sub_f32_e32 v76, v193, v103
	v_add_f32_e32 v93, v69, v70
	v_add_f32_e32 v94, v199, v209
	v_sub_f32_e32 v69, v69, v70
	v_sub_f32_e32 v70, v199, v209
	;; [unrolled: 4-line block ×4, first 2 shown]
	v_add_f32_e32 v100, v71, v72
	v_add_f32_e32 v101, v211, v221
	v_sub_f32_e32 v71, v71, v72
	v_add_f32_e32 v102, v79, v85
	v_add_f32_e32 v103, v213, v219
	v_sub_f32_e32 v79, v79, v85
	v_sub_f32_e32 v85, v213, v219
	v_add_f32_e32 v165, v80, v84
	v_add_f32_e32 v166, v215, v217
	v_sub_f32_e32 v80, v84, v80
	v_sub_f32_e32 v84, v217, v215
	v_add_f32_e32 v167, v89, v73
	v_add_f32_e32 v168, v90, v86
	v_sub_f32_e32 v72, v211, v221
	v_sub_f32_e32 v188, v89, v73
	v_sub_f32_e32 v189, v90, v86
	;; [unrolled: 1-line block ×6, first 2 shown]
	v_add_f32_e32 v190, v75, v67
	v_add_f32_e32 v191, v76, v81
	v_sub_f32_e32 v192, v75, v67
	v_sub_f32_e32 v193, v76, v81
	;; [unrolled: 1-line block ×4, first 2 shown]
	v_add_f32_e32 v67, v95, v93
	v_add_f32_e32 v195, v97, v94
	v_sub_f32_e32 v196, v95, v93
	v_sub_f32_e32 v197, v97, v94
	;; [unrolled: 1-line block ×6, first 2 shown]
	v_add_f32_e32 v198, v78, v77
	v_add_f32_e32 v199, v82, v83
	v_sub_f32_e32 v200, v78, v77
	v_sub_f32_e32 v201, v82, v83
	;; [unrolled: 1-line block ×4, first 2 shown]
	v_add_f32_e32 v202, v102, v100
	v_add_f32_e32 v203, v103, v101
	v_sub_f32_e32 v204, v102, v100
	v_sub_f32_e32 v205, v103, v101
	;; [unrolled: 1-line block ×4, first 2 shown]
	v_add_f32_e32 v206, v80, v79
	v_add_f32_e32 v207, v84, v85
	v_sub_f32_e32 v208, v80, v79
	v_sub_f32_e32 v209, v84, v85
	v_sub_f32_e32 v79, v79, v71
	v_add_f32_e32 v91, v91, v167
	v_add_f32_e32 v92, v92, v168
	v_sub_f32_e32 v75, v66, v75
	v_sub_f32_e32 v76, v68, v76
	;; [unrolled: 1-line block ×8, first 2 shown]
	v_add_f32_e32 v167, v190, v66
	v_add_f32_e32 v68, v191, v68
	v_mul_f32_e32 v73, 0x3f4a47b2, v73
	v_mul_f32_e32 v86, 0x3f4a47b2, v86
	;; [unrolled: 1-line block ×8, first 2 shown]
	v_add_f32_e32 v98, v98, v67
	v_add_f32_e32 v99, v99, v195
	;; [unrolled: 1-line block ×4, first 2 shown]
	v_mul_f32_e32 v93, 0x3f4a47b2, v93
	v_mul_f32_e32 v94, 0x3f4a47b2, v94
	;; [unrolled: 1-line block ×8, first 2 shown]
	v_add_f32_e32 v165, v165, v202
	v_add_f32_e32 v166, v166, v203
	;; [unrolled: 1-line block ×3, first 2 shown]
	v_mul_f32_e32 v101, 0x3f4a47b2, v101
	v_mul_f32_e32 v203, 0x3d64c772, v102
	;; [unrolled: 1-line block ×5, first 2 shown]
	v_add_f32_e32 v66, v184, v91
	v_add_f32_e32 v67, v185, v92
	v_sub_f32_e32 v84, v72, v84
	v_add_f32_e32 v71, v206, v71
	v_mul_f32_e32 v100, 0x3f4a47b2, v100
	v_mul_f32_e32 v206, 0x3d64c772, v103
	;; [unrolled: 1-line block ×3, first 2 shown]
	v_fmamk_f32 v89, v89, 0x3d64c772, v73
	v_fmamk_f32 v90, v90, 0x3d64c772, v86
	v_fma_f32 v168, 0x3f3bfb3b, v188, -v168
	v_fma_f32 v184, 0x3f3bfb3b, v189, -v190
	;; [unrolled: 1-line block ×4, first 2 shown]
	v_fmamk_f32 v188, v75, 0x3eae86e6, v191
	v_fmamk_f32 v189, v76, 0x3eae86e6, v192
	v_fma_f32 v190, 0x3f5ff5aa, v194, -v191
	v_fma_f32 v191, 0x3f5ff5aa, v81, -v192
	;; [unrolled: 1-line block ×4, first 2 shown]
	v_add_f32_e32 v72, v186, v98
	v_add_f32_e32 v73, v187, v99
	v_fmamk_f32 v81, v95, 0x3d64c772, v93
	v_fmamk_f32 v95, v97, 0x3d64c772, v94
	v_fma_f32 v97, 0x3f3bfb3b, v196, -v195
	v_fma_f32 v186, 0x3f3bfb3b, v197, -v198
	;; [unrolled: 1-line block ×4, first 2 shown]
	v_fmamk_f32 v187, v78, 0x3eae86e6, v199
	v_fmamk_f32 v194, v82, 0x3eae86e6, v200
	v_fma_f32 v195, 0x3f5ff5aa, v77, -v199
	v_fma_f32 v196, 0x3f5ff5aa, v83, -v200
	;; [unrolled: 1-line block ×4, first 2 shown]
	v_add_f32_e32 v75, v64, v165
	v_add_f32_e32 v76, v65, v166
	v_fmamk_f32 v65, v103, 0x3d64c772, v101
	v_fma_f32 v77, 0x3f3bfb3b, v204, -v203
	v_fmamk_f32 v103, v80, 0x3eae86e6, v207
	v_fma_f32 v200, 0x3f5ff5aa, v79, -v207
	v_fma_f32 v203, 0xbeae86e6, v80, -v209
	v_fmamk_f32 v79, v91, 0xbf955555, v66
	v_fmamk_f32 v80, v92, 0xbf955555, v67
	v_fmamk_f32 v64, v102, 0x3d64c772, v100
	v_fma_f32 v78, 0x3f3bfb3b, v205, -v206
	v_fma_f32 v82, 0xbf3bfb3b, v204, -v100
	;; [unrolled: 1-line block ×3, first 2 shown]
	v_fmamk_f32 v199, v84, 0x3eae86e6, v208
	v_fma_f32 v201, 0x3f5ff5aa, v85, -v208
	v_fma_f32 v204, 0xbeae86e6, v84, -v212
	v_fmac_f32_e32 v188, 0x3ee1c552, v167
	v_fmac_f32_e32 v189, 0x3ee1c552, v68
	;; [unrolled: 1-line block ×5, first 2 shown]
	v_fmamk_f32 v68, v98, 0xbf955555, v72
	v_fmamk_f32 v84, v99, 0xbf955555, v73
	v_fmac_f32_e32 v187, 0x3ee1c552, v69
	v_fmac_f32_e32 v194, 0x3ee1c552, v70
	;; [unrolled: 1-line block ×6, first 2 shown]
	v_fmamk_f32 v69, v165, 0xbf955555, v75
	v_fmamk_f32 v70, v166, 0xbf955555, v76
	v_fmac_f32_e32 v103, 0x3ee1c552, v71
	v_fmac_f32_e32 v200, 0x3ee1c552, v71
	;; [unrolled: 1-line block ×3, first 2 shown]
	v_add_f32_e32 v71, v89, v79
	v_add_f32_e32 v90, v90, v80
	;; [unrolled: 1-line block ×4, first 2 shown]
	v_fmac_f32_e32 v190, 0x3ee1c552, v167
	v_add_f32_e32 v85, v168, v79
	v_add_f32_e32 v89, v184, v80
	v_fmac_f32_e32 v199, 0x3ee1c552, v202
	v_fmac_f32_e32 v201, 0x3ee1c552, v202
	v_fmac_f32_e32 v204, 0x3ee1c552, v202
	v_add_f32_e32 v165, v81, v68
	v_add_f32_e32 v95, v95, v84
	;; [unrolled: 1-line block ×13, first 2 shown]
	v_sub_f32_e32 v78, v90, v188
	v_add_f32_e32 v79, v193, v91
	v_sub_f32_e32 v80, v86, v192
	v_sub_f32_e32 v81, v85, v191
	v_add_f32_e32 v82, v190, v89
	v_add_f32_e32 v83, v191, v85
	v_sub_f32_e32 v84, v89, v190
	v_sub_f32_e32 v85, v91, v193
	v_add_f32_e32 v86, v192, v86
	v_sub_f32_e32 v89, v71, v189
	v_add_f32_e32 v90, v188, v90
	v_add_f32_e32 v91, v194, v165
	v_sub_f32_e32 v92, v95, v187
	v_add_f32_e32 v93, v198, v68
	v_sub_f32_e32 v94, v102, v197
	v_sub_f32_e32 v97, v99, v196
	v_add_f32_e32 v98, v195, v100
	v_add_f32_e32 v99, v196, v99
	v_sub_f32_e32 v100, v100, v195
	v_sub_f32_e32 v101, v68, v198
	v_add_f32_e32 v102, v197, v102
	v_sub_f32_e32 v167, v165, v194
	v_add_f32_e32 v168, v187, v95
	v_add_f32_e32 v184, v199, v64
	v_sub_f32_e32 v185, v65, v103
	v_add_f32_e32 v186, v204, v206
	v_sub_f32_e32 v187, v207, v203
	v_sub_f32_e32 v165, v202, v201
	v_add_f32_e32 v166, v200, v205
	v_add_f32_e32 v68, v201, v202
	v_sub_f32_e32 v69, v205, v200
	v_sub_f32_e32 v70, v206, v204
	v_add_f32_e32 v71, v203, v207
	v_sub_f32_e32 v64, v64, v199
	v_add_f32_e32 v65, v103, v65
	ds_write2_b64 v169, v[77:78], v[79:80] offset0:51 offset1:102
	ds_write2_b64 v169, v[81:82], v[83:84] offset0:153 offset1:204
	;; [unrolled: 1-line block ×3, first 2 shown]
	ds_write2_b64 v169, v[66:67], v[72:73] offset1:17
	ds_write_b64 v169, v[75:76] offset:272
	ds_write2_b64 v183, v[91:92], v[184:185] offset0:68 offset1:85
	ds_write2_b64 v183, v[93:94], v[186:187] offset0:119 offset1:136
	;; [unrolled: 1-line block ×6, first 2 shown]
	v_add_co_u32 v66, s0, s2, v74
	v_add_co_ci_u32_e64 v67, null, s3, 0, s0
	s_waitcnt lgkmcnt(0)
	v_add_co_u32 v72, s0, 0x800, v66
	v_add_co_ci_u32_e64 v73, s0, 0, v67, s0
	s_barrier
	buffer_gl0_inv
	s_clause 0x10
	global_load_dwordx2 v[86:87], v74, s[2:3]
	global_load_dwordx2 v[93:94], v74, s[2:3] offset:168
	global_load_dwordx2 v[101:102], v74, s[2:3] offset:336
	;; [unrolled: 1-line block ×12, first 2 shown]
	global_load_dwordx2 v[214:215], v[72:73], off offset:136
	global_load_dwordx2 v[216:217], v[72:73], off offset:304
	;; [unrolled: 1-line block ×4, first 2 shown]
	ds_read2_b64 v[74:77], v169 offset1:21
	ds_read2_b64 v[78:81], v169 offset0:42 offset1:63
	ds_read2_b64 v[82:85], v169 offset0:84 offset1:105
	;; [unrolled: 1-line block ×7, first 2 shown]
	ds_read_b64 v[222:223], v169 offset:2688
	s_waitcnt vmcnt(16) lgkmcnt(8)
	v_mul_f32_e32 v224, v75, v87
	v_mul_f32_e32 v95, v74, v87
	s_waitcnt vmcnt(15)
	v_mul_f32_e32 v226, v77, v94
	v_mul_f32_e32 v87, v76, v94
	s_waitcnt vmcnt(14) lgkmcnt(7)
	v_mul_f32_e32 v227, v79, v102
	v_mul_f32_e32 v103, v78, v102
	s_waitcnt vmcnt(13)
	v_mul_f32_e32 v228, v81, v168
	v_mul_f32_e32 v225, v80, v168
	;; [unrolled: 6-line block ×8, first 2 shown]
	s_waitcnt vmcnt(0) lgkmcnt(0)
	v_mul_f32_e32 v241, v223, v221
	v_mul_f32_e32 v219, v222, v221
	v_fma_f32 v94, v74, v86, -v224
	v_fmac_f32_e32 v95, v75, v86
	v_fma_f32 v86, v76, v93, -v226
	v_fmac_f32_e32 v87, v77, v93
	v_fma_f32 v102, v78, v101, -v227
	v_fmac_f32_e32 v103, v79, v101
	v_fma_f32 v224, v80, v167, -v228
	v_fmac_f32_e32 v225, v81, v167
	v_fma_f32 v167, v82, v196, -v229
	v_fmac_f32_e32 v168, v83, v196
	v_fma_f32 v196, v84, v198, -v230
	v_fmac_f32_e32 v197, v85, v198
	v_fma_f32 v198, v89, v200, -v231
	v_fmac_f32_e32 v199, v90, v200
	v_fma_f32 v200, v91, v202, -v232
	v_fmac_f32_e32 v201, v92, v202
	v_fma_f32 v202, v97, v204, -v233
	v_fmac_f32_e32 v203, v98, v204
	v_fma_f32 v204, v99, v206, -v234
	v_fmac_f32_e32 v205, v100, v206
	v_fma_f32 v206, v184, v208, -v235
	v_fmac_f32_e32 v207, v185, v208
	v_fma_f32 v208, v186, v210, -v236
	v_fmac_f32_e32 v209, v187, v210
	v_fma_f32 v210, v188, v212, -v237
	v_fmac_f32_e32 v211, v189, v212
	v_fma_f32 v212, v190, v214, -v238
	v_fmac_f32_e32 v213, v191, v214
	v_fma_f32 v214, v192, v216, -v239
	v_fmac_f32_e32 v215, v193, v216
	v_fma_f32 v216, v194, v218, -v240
	v_fmac_f32_e32 v217, v195, v218
	v_fma_f32 v218, v222, v220, -v241
	v_fmac_f32_e32 v219, v223, v220
	ds_write2_b64 v169, v[94:95], v[86:87] offset1:21
	ds_write2_b64 v169, v[102:103], v[224:225] offset0:42 offset1:63
	ds_write2_b64 v169, v[167:168], v[196:197] offset0:84 offset1:105
	;; [unrolled: 1-line block ×7, first 2 shown]
	ds_write_b64 v169, v[218:219] offset:2688
	s_and_saveexec_b32 s0, vcc_lo
	s_cbranch_execz .LBB0_9
; %bb.8:
	s_clause 0xf
	global_load_dwordx2 v[93:94], v[66:67], off offset:136
	global_load_dwordx2 v[101:102], v[66:67], off offset:304
	;; [unrolled: 1-line block ×16, first 2 shown]
	v_lshl_or_b32 v72, v120, 3, 0xa60
	global_load_dwordx2 v[216:217], v72, s[2:3]
	ds_read2_b64 v[72:75], v169 offset0:17 offset1:38
	ds_read2_b64 v[76:79], v169 offset0:59 offset1:80
	;; [unrolled: 1-line block ×8, first 2 shown]
	ds_read_b64 v[218:219], v169 offset:2824
	s_waitcnt vmcnt(16) lgkmcnt(8)
	v_mul_f32_e32 v220, v73, v94
	v_mul_f32_e32 v95, v72, v94
	s_waitcnt vmcnt(15)
	v_mul_f32_e32 v222, v75, v102
	v_mul_f32_e32 v103, v74, v102
	s_waitcnt vmcnt(14) lgkmcnt(7)
	v_mul_f32_e32 v223, v77, v168
	v_mul_f32_e32 v221, v76, v168
	s_waitcnt vmcnt(13)
	v_mul_f32_e32 v224, v79, v193
	v_mul_f32_e32 v168, v78, v193
	;; [unrolled: 6-line block ×7, first 2 shown]
	s_waitcnt vmcnt(2) lgkmcnt(1)
	v_mul_f32_e32 v235, v189, v213
	v_mul_f32_e32 v211, v188, v213
	v_fma_f32 v94, v72, v93, -v220
	v_fmac_f32_e32 v95, v73, v93
	s_waitcnt vmcnt(0)
	v_mul_f32_e32 v72, v191, v217
	v_mul_f32_e32 v73, v190, v217
	s_waitcnt lgkmcnt(0)
	v_mul_f32_e32 v236, v219, v215
	v_mul_f32_e32 v213, v218, v215
	v_fma_f32 v102, v74, v101, -v222
	v_fmac_f32_e32 v103, v75, v101
	v_fma_f32 v220, v76, v167, -v223
	v_fmac_f32_e32 v221, v77, v167
	v_fma_f32 v167, v78, v192, -v224
	v_fmac_f32_e32 v168, v79, v192
	v_fma_f32 v192, v80, v194, -v225
	v_fmac_f32_e32 v193, v81, v194
	v_fma_f32 v194, v82, v196, -v226
	v_fmac_f32_e32 v195, v83, v196
	v_fma_f32 v196, v84, v198, -v227
	v_fmac_f32_e32 v197, v85, v198
	v_fma_f32 v198, v86, v200, -v228
	v_fmac_f32_e32 v199, v87, v200
	v_fma_f32 v200, v89, v202, -v229
	v_fmac_f32_e32 v201, v90, v202
	v_fma_f32 v202, v91, v204, -v230
	v_fmac_f32_e32 v203, v92, v204
	v_fma_f32 v204, v97, v206, -v231
	v_fmac_f32_e32 v205, v98, v206
	v_fma_f32 v206, v99, v66, -v232
	v_fmac_f32_e32 v207, v100, v66
	v_fma_f32 v66, v184, v208, -v233
	v_fmac_f32_e32 v67, v185, v208
	v_fma_f32 v208, v186, v210, -v234
	v_fmac_f32_e32 v209, v187, v210
	v_fma_f32 v210, v188, v212, -v235
	v_fmac_f32_e32 v211, v189, v212
	v_fma_f32 v72, v190, v216, -v72
	v_fmac_f32_e32 v73, v191, v216
	v_fma_f32 v212, v218, v214, -v236
	v_fmac_f32_e32 v213, v219, v214
	ds_write2_b64 v169, v[94:95], v[102:103] offset0:17 offset1:38
	ds_write2_b64 v169, v[220:221], v[167:168] offset0:59 offset1:80
	;; [unrolled: 1-line block ×8, first 2 shown]
	ds_write_b64 v169, v[212:213] offset:2824
.LBB0_9:
	s_or_b32 exec_lo, exec_lo, s0
	s_waitcnt lgkmcnt(0)
	s_barrier
	buffer_gl0_inv
	ds_read2_b64 v[100:103], v169 offset1:21
	ds_read2_b64 v[92:95], v169 offset0:42 offset1:63
	ds_read2_b64 v[84:87], v169 offset0:84 offset1:105
	ds_read2_b64 v[76:79], v169 offset0:126 offset1:147
	ds_read2_b64 v[72:75], v169 offset0:168 offset1:189
	ds_read2_b64 v[80:83], v169 offset0:210 offset1:231
	ds_read2_b64 v[88:91], v88 offset0:124 offset1:145
	ds_read2_b64 v[96:99], v96 offset0:38 offset1:59
	ds_read_b64 v[167:168], v169 offset:2688
	s_and_saveexec_b32 s0, vcc_lo
	s_cbranch_execz .LBB0_11
; %bb.10:
	v_lshl_add_u32 v64, v120, 3, v106
	ds_read2_b64 v[143:146], v64 offset0:206 offset1:227
	ds_read2_b64 v[147:150], v64 offset0:164 offset1:185
	v_add_nc_u32_e32 v24, 0x400, v64
	v_add_nc_u32_e32 v25, 0x800, v64
	ds_read2_b64 v[184:187], v64 offset0:122 offset1:143
	ds_read2_b64 v[188:191], v24 offset0:120 offset1:141
	;; [unrolled: 1-line block ×3, first 2 shown]
	ds_read_b64 v[165:166], v169 offset:136
	ds_read2_b64 v[24:27], v25 offset0:76 offset1:97
	ds_read2_b64 v[68:71], v64 offset0:38 offset1:59
	;; [unrolled: 1-line block ×3, first 2 shown]
	s_waitcnt lgkmcnt(8)
	v_mov_b32_e32 v161, v143
	v_mov_b32_e32 v162, v144
	;; [unrolled: 1-line block ×4, first 2 shown]
	s_waitcnt lgkmcnt(7)
	v_mov_b32_e32 v163, v149
	v_mov_b32_e32 v164, v150
	;; [unrolled: 1-line block ×4, first 2 shown]
	s_waitcnt lgkmcnt(6)
	v_mov_b32_e32 v153, v186
	s_waitcnt lgkmcnt(5)
	v_mov_b32_e32 v155, v188
	v_mov_b32_e32 v156, v189
	;; [unrolled: 1-line block ×4, first 2 shown]
	s_waitcnt lgkmcnt(4)
	v_mov_b32_e32 v145, v192
	v_mov_b32_e32 v146, v193
	;; [unrolled: 1-line block ×7, first 2 shown]
	s_waitcnt lgkmcnt(0)
	v_mov_b32_e32 v147, v66
	v_mov_b32_e32 v148, v67
.LBB0_11:
	s_or_b32 exec_lo, exec_lo, s0
	s_waitcnt lgkmcnt(8)
	v_add_f32_e32 v67, v101, v103
	v_add_f32_e32 v66, v100, v102
	s_waitcnt lgkmcnt(0)
	v_sub_f32_e32 v186, v103, v168
	v_add_f32_e32 v103, v168, v103
	v_add_f32_e32 v185, v167, v102
	;; [unrolled: 1-line block ×4, first 2 shown]
	v_sub_f32_e32 v102, v102, v167
	v_mul_f32_e32 v194, 0x3dbcf732, v103
	v_mul_f32_e32 v187, 0xbeb8f4ab, v186
	v_add_f32_e32 v67, v67, v95
	v_add_f32_e32 v66, v66, v94
	v_mul_f32_e32 v188, 0x3f6eb680, v103
	v_fmamk_f32 v203, v102, 0x3f7ee86f, v194
	v_mul_f32_e32 v189, 0xbf2c7751, v186
	v_add_f32_e32 v67, v67, v85
	v_add_f32_e32 v66, v66, v84
	v_mul_f32_e32 v190, 0x3f3d2fb0, v103
	v_mul_f32_e32 v191, 0xbf65296c, v186
	v_mul_f32_e32 v192, 0x3ee437d1, v103
	v_add_f32_e32 v67, v67, v87
	v_add_f32_e32 v66, v66, v86
	v_mul_f32_e32 v193, 0xbf7ee86f, v186
	v_mul_f32_e32 v195, 0xbf763a35, v186
	;; [unrolled: 5-line block ×3, first 2 shown]
	v_mul_f32_e32 v210, 0xbf59a7d5, v103
	v_add_f32_e32 v67, v67, v79
	v_add_f32_e32 v66, v66, v78
	v_mul_f32_e32 v186, 0xbe3c28d5, v186
	v_sub_f32_e32 v214, v93, v99
	v_add_f32_e32 v93, v99, v93
	v_add_f32_e32 v67, v67, v73
	;; [unrolled: 1-line block ×3, first 2 shown]
	v_fmamk_f32 v196, v185, 0x3f6eb680, v187
	v_fmamk_f32 v197, v102, 0x3eb8f4ab, v188
	v_fma_f32 v187, 0x3f6eb680, v185, -v187
	v_add_f32_e32 v67, v67, v75
	v_add_f32_e32 v66, v66, v74
	v_fmac_f32_e32 v188, 0xbeb8f4ab, v102
	v_fmamk_f32 v198, v185, 0x3f3d2fb0, v189
	v_fmamk_f32 v199, v102, 0x3f2c7751, v190
	v_add_f32_e32 v67, v67, v81
	v_add_f32_e32 v66, v66, v80
	v_fma_f32 v189, 0x3f3d2fb0, v185, -v189
	v_fmac_f32_e32 v190, 0xbf2c7751, v102
	v_fmamk_f32 v200, v185, 0x3ee437d1, v191
	v_add_f32_e32 v67, v67, v83
	v_add_f32_e32 v66, v66, v82
	v_fmamk_f32 v201, v102, 0x3f65296c, v192
	v_fma_f32 v191, 0x3ee437d1, v185, -v191
	v_fmac_f32_e32 v192, 0xbf65296c, v102
	v_add_f32_e32 v67, v67, v89
	v_add_f32_e32 v66, v66, v88
	v_fmamk_f32 v202, v185, 0x3dbcf732, v193
	v_fma_f32 v193, 0x3dbcf732, v185, -v193
	v_fmac_f32_e32 v194, 0xbf7ee86f, v102
	v_add_f32_e32 v67, v67, v91
	v_add_f32_e32 v66, v66, v90
	v_fmamk_f32 v207, v185, 0xbf1a4643, v204
	v_fmamk_f32 v208, v102, 0x3f4c4adb, v206
	v_fma_f32 v204, 0xbf1a4643, v185, -v204
	v_add_f32_e32 v67, v67, v97
	v_add_f32_e32 v66, v66, v96
	v_fmac_f32_e32 v206, 0xbf4c4adb, v102
	v_fmamk_f32 v211, v185, 0xbf59a7d5, v209
	v_fmamk_f32 v212, v102, 0x3f06c442, v210
	v_add_f32_e32 v67, v67, v99
	v_add_f32_e32 v66, v66, v98
	v_fma_f32 v209, 0xbf59a7d5, v185, -v209
	v_fmac_f32_e32 v210, 0xbf06c442, v102
	v_fmamk_f32 v213, v185, 0xbf7ba420, v186
	v_add_f32_e32 v67, v67, v168
	v_add_f32_e32 v168, v101, v203
	v_mul_f32_e32 v203, 0xbe8c1d8e, v103
	v_mul_f32_e32 v103, 0xbf7ba420, v103
	v_add_f32_e32 v66, v66, v167
	v_fmamk_f32 v167, v185, 0xbe8c1d8e, v195
	v_fma_f32 v195, 0xbe8c1d8e, v185, -v195
	v_fmamk_f32 v205, v102, 0x3f763a35, v203
	v_fmac_f32_e32 v203, 0xbf763a35, v102
	v_fmamk_f32 v215, v102, 0x3e3c28d5, v103
	v_fma_f32 v185, 0xbf7ba420, v185, -v186
	v_add_f32_e32 v99, v98, v92
	v_mul_f32_e32 v186, 0xbf2c7751, v214
	v_fmac_f32_e32 v103, 0xbe3c28d5, v102
	v_sub_f32_e32 v92, v92, v98
	v_mul_f32_e32 v98, 0x3f3d2fb0, v93
	v_add_f32_e32 v196, v100, v196
	v_add_f32_e32 v197, v101, v197
	;; [unrolled: 1-line block ×29, first 2 shown]
	v_fmamk_f32 v215, v99, 0x3f3d2fb0, v186
	v_add_f32_e32 v100, v100, v185
	v_add_f32_e32 v101, v101, v103
	v_fmamk_f32 v103, v92, 0x3f2c7751, v98
	v_mul_f32_e32 v185, 0xbf7ee86f, v214
	v_fma_f32 v186, 0x3f3d2fb0, v99, -v186
	v_add_f32_e32 v196, v215, v196
	v_fmac_f32_e32 v98, 0xbf2c7751, v92
	v_add_f32_e32 v103, v103, v197
	v_fmamk_f32 v197, v99, 0x3dbcf732, v185
	v_mul_f32_e32 v215, 0x3dbcf732, v93
	v_add_f32_e32 v186, v186, v187
	v_mul_f32_e32 v187, 0xbf4c4adb, v214
	v_add_f32_e32 v98, v98, v188
	v_add_f32_e32 v188, v197, v198
	v_fmamk_f32 v197, v92, 0x3f7ee86f, v215
	v_fma_f32 v185, 0x3dbcf732, v99, -v185
	v_fmac_f32_e32 v215, 0xbf7ee86f, v92
	v_fmamk_f32 v198, v99, 0xbf1a4643, v187
	v_mul_f32_e32 v216, 0xbf1a4643, v93
	v_add_f32_e32 v197, v197, v199
	v_add_f32_e32 v185, v185, v189
	;; [unrolled: 1-line block ×4, first 2 shown]
	v_fmamk_f32 v198, v92, 0x3f4c4adb, v216
	v_mul_f32_e32 v199, 0xbe3c28d5, v214
	v_fma_f32 v187, 0xbf1a4643, v99, -v187
	v_fmac_f32_e32 v216, 0xbf4c4adb, v92
	v_mul_f32_e32 v200, 0xbf7ba420, v93
	v_add_f32_e32 v198, v198, v201
	v_fmamk_f32 v201, v99, 0xbf7ba420, v199
	v_add_f32_e32 v187, v187, v191
	v_add_f32_e32 v191, v216, v192
	v_fmamk_f32 v192, v92, 0x3e3c28d5, v200
	v_mul_f32_e32 v215, 0x3f06c442, v214
	v_add_f32_e32 v201, v201, v202
	v_fma_f32 v199, 0xbf7ba420, v99, -v199
	v_fmac_f32_e32 v200, 0xbe3c28d5, v92
	v_add_f32_e32 v168, v192, v168
	v_fmamk_f32 v192, v99, 0xbf59a7d5, v215
	v_mul_f32_e32 v202, 0xbf59a7d5, v93
	v_add_f32_e32 v193, v199, v193
	v_add_f32_e32 v194, v200, v194
	v_mul_f32_e32 v199, 0x3f763a35, v214
	v_add_f32_e32 v167, v192, v167
	v_fmamk_f32 v192, v92, 0xbf06c442, v202
	v_fma_f32 v200, 0xbf59a7d5, v99, -v215
	v_fmac_f32_e32 v202, 0x3f06c442, v92
	v_mul_f32_e32 v216, 0xbe8c1d8e, v93
	v_fmamk_f32 v215, v99, 0xbe8c1d8e, v199
	v_add_f32_e32 v192, v192, v205
	v_add_f32_e32 v195, v200, v195
	;; [unrolled: 1-line block ×3, first 2 shown]
	v_fmamk_f32 v203, v92, 0xbf763a35, v216
	v_mul_f32_e32 v205, 0x3f65296c, v214
	v_add_f32_e32 v202, v215, v207
	v_fma_f32 v199, 0xbe8c1d8e, v99, -v199
	v_mul_f32_e32 v207, 0x3ee437d1, v93
	v_add_f32_e32 v203, v203, v208
	v_fmamk_f32 v208, v99, 0x3ee437d1, v205
	v_mul_f32_e32 v214, 0x3eb8f4ab, v214
	v_fma_f32 v205, 0x3ee437d1, v99, -v205
	v_add_f32_e32 v199, v199, v204
	v_fmamk_f32 v204, v92, 0xbf65296c, v207
	v_add_f32_e32 v208, v208, v211
	v_fmac_f32_e32 v207, 0x3f65296c, v92
	v_fmamk_f32 v211, v99, 0x3f6eb680, v214
	v_add_f32_e32 v205, v205, v209
	v_sub_f32_e32 v209, v95, v97
	v_add_f32_e32 v204, v204, v212
	v_mul_f32_e32 v93, 0x3f6eb680, v93
	v_add_f32_e32 v207, v207, v210
	v_add_f32_e32 v210, v211, v213
	;; [unrolled: 1-line block ×3, first 2 shown]
	v_mul_f32_e32 v213, 0xbf65296c, v209
	v_add_f32_e32 v95, v97, v95
	v_fmac_f32_e32 v216, 0x3f763a35, v92
	v_fmamk_f32 v211, v92, 0xbeb8f4ab, v93
	v_fma_f32 v97, 0x3f6eb680, v99, -v214
	v_fmac_f32_e32 v93, 0x3eb8f4ab, v92
	v_sub_f32_e32 v92, v94, v96
	v_fmamk_f32 v94, v212, 0x3ee437d1, v213
	v_mul_f32_e32 v96, 0x3ee437d1, v95
	v_add_f32_e32 v99, v211, v102
	v_add_f32_e32 v97, v97, v100
	;; [unrolled: 1-line block ×4, first 2 shown]
	v_fmamk_f32 v100, v92, 0x3f65296c, v96
	v_mul_f32_e32 v101, 0xbf4c4adb, v209
	v_fma_f32 v102, 0x3ee437d1, v212, -v213
	v_fmac_f32_e32 v96, 0xbf65296c, v92
	v_mul_f32_e32 v196, 0xbf1a4643, v95
	v_add_f32_e32 v100, v100, v103
	v_fmamk_f32 v103, v212, 0xbf1a4643, v101
	v_add_f32_e32 v102, v102, v186
	v_add_f32_e32 v96, v96, v98
	v_fmamk_f32 v98, v92, 0x3f4c4adb, v196
	v_mul_f32_e32 v186, 0x3e3c28d5, v209
	v_fma_f32 v101, 0xbf1a4643, v212, -v101
	v_fmac_f32_e32 v196, 0xbf4c4adb, v92
	v_add_f32_e32 v103, v103, v188
	v_add_f32_e32 v98, v98, v197
	v_fmamk_f32 v188, v212, 0xbf7ba420, v186
	v_mul_f32_e32 v197, 0xbf7ba420, v95
	v_add_f32_e32 v101, v101, v185
	v_add_f32_e32 v185, v196, v189
	v_mul_f32_e32 v189, 0x3f763a35, v209
	v_add_f32_e32 v188, v188, v190
	v_fmamk_f32 v190, v92, 0xbe3c28d5, v197
	v_fma_f32 v186, 0xbf7ba420, v212, -v186
	v_fmac_f32_e32 v197, 0x3e3c28d5, v92
	v_fmamk_f32 v196, v212, 0xbe8c1d8e, v189
	v_mul_f32_e32 v211, 0xbe8c1d8e, v95
	v_add_f32_e32 v190, v190, v198
	v_add_f32_e32 v186, v186, v187
	;; [unrolled: 1-line block ×4, first 2 shown]
	v_fmamk_f32 v196, v92, 0xbf763a35, v211
	v_mul_f32_e32 v197, 0x3f2c7751, v209
	v_fma_f32 v189, 0xbe8c1d8e, v212, -v189
	v_fmac_f32_e32 v211, 0x3f763a35, v92
	v_mul_f32_e32 v198, 0x3f3d2fb0, v95
	v_add_f32_e32 v168, v196, v168
	v_fmamk_f32 v196, v212, 0x3f3d2fb0, v197
	v_add_f32_e32 v189, v189, v193
	v_add_f32_e32 v193, v211, v194
	v_fmamk_f32 v194, v92, 0xbf2c7751, v198
	v_mul_f32_e32 v201, 0xbeb8f4ab, v209
	v_add_f32_e32 v167, v196, v167
	v_fma_f32 v196, 0x3f3d2fb0, v212, -v197
	v_fmac_f32_e32 v198, 0x3f2c7751, v92
	v_add_f32_e32 v192, v194, v192
	v_fmamk_f32 v194, v212, 0x3f6eb680, v201
	v_mul_f32_e32 v197, 0x3f6eb680, v95
	v_add_f32_e32 v195, v196, v195
	v_add_f32_e32 v196, v198, v200
	v_mul_f32_e32 v198, 0xbf7ee86f, v209
	v_add_f32_e32 v194, v194, v202
	v_fma_f32 v201, 0x3f6eb680, v212, -v201
	v_mul_f32_e32 v211, 0x3dbcf732, v95
	v_add_f32_e32 v206, v216, v206
	v_fmamk_f32 v202, v212, 0x3dbcf732, v198
	v_fmamk_f32 v200, v92, 0x3eb8f4ab, v197
	v_fmac_f32_e32 v197, 0xbeb8f4ab, v92
	v_add_f32_e32 v199, v201, v199
	v_mul_f32_e32 v95, 0xbf59a7d5, v95
	v_add_f32_e32 v201, v202, v208
	v_fmamk_f32 v202, v92, 0x3f7ee86f, v211
	v_fma_f32 v198, 0x3dbcf732, v212, -v198
	v_fmac_f32_e32 v211, 0xbf7ee86f, v92
	v_add_f32_e32 v200, v200, v203
	v_add_f32_e32 v197, v197, v206
	v_mul_f32_e32 v203, 0xbf06c442, v209
	v_fmamk_f32 v206, v92, 0x3f06c442, v95
	v_add_f32_e32 v198, v198, v205
	v_add_f32_e32 v205, v211, v207
	v_sub_f32_e32 v207, v85, v91
	v_add_f32_e32 v85, v91, v85
	v_add_f32_e32 v202, v202, v204
	v_fmamk_f32 v204, v212, 0xbf59a7d5, v203
	v_add_f32_e32 v99, v206, v99
	v_add_f32_e32 v206, v90, v84
	v_mul_f32_e32 v91, 0xbf7ee86f, v207
	v_fma_f32 v203, 0xbf59a7d5, v212, -v203
	v_fmac_f32_e32 v95, 0xbf06c442, v92
	v_sub_f32_e32 v84, v84, v90
	v_mul_f32_e32 v90, 0x3dbcf732, v85
	v_fmamk_f32 v92, v206, 0x3dbcf732, v91
	v_add_f32_e32 v97, v203, v97
	v_add_f32_e32 v93, v95, v93
	v_mul_f32_e32 v95, 0xbe3c28d5, v207
	v_fmamk_f32 v203, v84, 0x3f7ee86f, v90
	v_add_f32_e32 v92, v92, v94
	v_fma_f32 v91, 0x3dbcf732, v206, -v91
	v_fmac_f32_e32 v90, 0xbf7ee86f, v84
	v_fmamk_f32 v94, v206, 0xbf7ba420, v95
	v_add_f32_e32 v100, v203, v100
	v_mul_f32_e32 v203, 0xbf7ba420, v85
	v_add_f32_e32 v91, v91, v102
	v_add_f32_e32 v90, v90, v96
	;; [unrolled: 1-line block ×3, first 2 shown]
	v_mul_f32_e32 v96, 0x3f763a35, v207
	v_fmamk_f32 v102, v84, 0x3e3c28d5, v203
	v_mul_f32_e32 v103, 0xbe8c1d8e, v85
	v_fma_f32 v95, 0xbf7ba420, v206, -v95
	v_fmac_f32_e32 v203, 0xbe3c28d5, v84
	v_fmamk_f32 v208, v206, 0xbe8c1d8e, v96
	v_add_f32_e32 v98, v102, v98
	v_fmamk_f32 v102, v84, 0xbf763a35, v103
	v_add_f32_e32 v95, v95, v101
	v_add_f32_e32 v101, v203, v185
	;; [unrolled: 1-line block ×3, first 2 shown]
	v_mul_f32_e32 v188, 0x3eb8f4ab, v207
	v_fma_f32 v96, 0xbe8c1d8e, v206, -v96
	v_fmac_f32_e32 v103, 0x3f763a35, v84
	v_add_f32_e32 v102, v102, v190
	v_mul_f32_e32 v190, 0x3f6eb680, v85
	v_fmamk_f32 v203, v206, 0x3f6eb680, v188
	v_add_f32_e32 v96, v96, v186
	v_add_f32_e32 v103, v103, v187
	v_mul_f32_e32 v186, 0xbf65296c, v207
	v_fmamk_f32 v187, v84, 0xbeb8f4ab, v190
	v_add_f32_e32 v191, v203, v191
	v_fma_f32 v188, 0x3f6eb680, v206, -v188
	v_fmac_f32_e32 v190, 0x3eb8f4ab, v84
	v_fmamk_f32 v203, v206, 0x3ee437d1, v186
	v_add_f32_e32 v168, v187, v168
	v_mul_f32_e32 v187, 0x3ee437d1, v85
	v_add_f32_e32 v188, v188, v189
	v_add_f32_e32 v189, v190, v193
	;; [unrolled: 1-line block ×3, first 2 shown]
	v_mul_f32_e32 v190, 0xbf06c442, v207
	v_fmamk_f32 v193, v84, 0x3f65296c, v187
	v_fma_f32 v186, 0x3ee437d1, v206, -v186
	v_mul_f32_e32 v203, 0xbf59a7d5, v85
	v_fmac_f32_e32 v187, 0xbf65296c, v84
	v_fmamk_f32 v208, v206, 0xbf59a7d5, v190
	v_add_f32_e32 v192, v193, v192
	v_add_f32_e32 v186, v186, v195
	v_fmamk_f32 v193, v84, 0x3f06c442, v203
	v_mul_f32_e32 v195, 0x3f4c4adb, v207
	v_fma_f32 v190, 0xbf59a7d5, v206, -v190
	v_add_f32_e32 v204, v204, v210
	v_add_f32_e32 v187, v187, v196
	;; [unrolled: 1-line block ×3, first 2 shown]
	v_fmamk_f32 v200, v206, 0xbf1a4643, v195
	v_add_f32_e32 v190, v190, v199
	v_mul_f32_e32 v199, 0x3f2c7751, v207
	v_fmac_f32_e32 v203, 0xbf06c442, v84
	v_mul_f32_e32 v196, 0xbf1a4643, v85
	v_add_f32_e32 v200, v200, v201
	v_fma_f32 v195, 0xbf1a4643, v206, -v195
	v_fmamk_f32 v201, v206, 0x3f3d2fb0, v199
	v_add_f32_e32 v197, v203, v197
	v_fmamk_f32 v203, v84, 0xbf4c4adb, v196
	v_mul_f32_e32 v85, 0x3f3d2fb0, v85
	v_add_f32_e32 v195, v195, v198
	v_add_f32_e32 v198, v201, v204
	v_sub_f32_e32 v201, v87, v89
	v_add_f32_e32 v87, v89, v87
	v_fmac_f32_e32 v196, 0x3f4c4adb, v84
	v_add_f32_e32 v202, v203, v202
	v_fmamk_f32 v203, v84, 0xbf2c7751, v85
	v_fma_f32 v199, 0x3f3d2fb0, v206, -v199
	v_add_f32_e32 v89, v88, v86
	v_mul_f32_e32 v204, 0xbf763a35, v201
	v_fmac_f32_e32 v85, 0x3f2c7751, v84
	v_sub_f32_e32 v84, v86, v88
	v_mul_f32_e32 v86, 0xbe8c1d8e, v87
	v_add_f32_e32 v88, v203, v99
	v_fmamk_f32 v99, v89, 0xbe8c1d8e, v204
	v_add_f32_e32 v97, v199, v97
	v_add_f32_e32 v85, v85, v93
	v_fmamk_f32 v93, v84, 0x3f763a35, v86
	v_mul_f32_e32 v199, 0x3f06c442, v201
	v_fmac_f32_e32 v86, 0xbf763a35, v84
	v_add_f32_e32 v92, v99, v92
	v_fma_f32 v99, 0xbe8c1d8e, v89, -v204
	v_add_f32_e32 v93, v93, v100
	v_fmamk_f32 v100, v89, 0xbf59a7d5, v199
	v_mul_f32_e32 v203, 0xbf59a7d5, v87
	v_add_f32_e32 v86, v86, v90
	v_mul_f32_e32 v90, 0x3f2c7751, v201
	v_add_f32_e32 v91, v99, v91
	v_add_f32_e32 v94, v100, v94
	v_fmamk_f32 v99, v84, 0xbf06c442, v203
	v_fma_f32 v100, 0xbf59a7d5, v89, -v199
	v_fmac_f32_e32 v203, 0x3f06c442, v84
	v_fmamk_f32 v199, v89, 0x3f3d2fb0, v90
	v_mul_f32_e32 v204, 0x3f3d2fb0, v87
	v_add_f32_e32 v98, v99, v98
	v_add_f32_e32 v95, v100, v95
	v_add_f32_e32 v99, v203, v101
	v_add_f32_e32 v100, v199, v185
	v_fmamk_f32 v101, v84, 0xbf2c7751, v204
	v_mul_f32_e32 v185, 0xbf65296c, v201
	v_fma_f32 v90, 0x3f3d2fb0, v89, -v90
	v_fmac_f32_e32 v204, 0x3f2c7751, v84
	v_mul_f32_e32 v199, 0x3ee437d1, v87
	v_add_f32_e32 v101, v101, v102
	v_fmamk_f32 v102, v89, 0x3ee437d1, v185
	v_add_f32_e32 v90, v90, v96
	v_add_f32_e32 v96, v204, v103
	v_fmamk_f32 v103, v84, 0x3f65296c, v199
	v_mul_f32_e32 v203, 0xbe3c28d5, v201
	v_fma_f32 v185, 0x3ee437d1, v89, -v185
	v_fmac_f32_e32 v199, 0xbf65296c, v84
	v_add_f32_e32 v102, v102, v191
	v_add_f32_e32 v103, v103, v168
	v_fmamk_f32 v168, v89, 0xbf7ba420, v203
	v_mul_f32_e32 v191, 0xbf7ba420, v87
	v_add_f32_e32 v185, v185, v188
	v_add_f32_e32 v188, v199, v189
	v_mul_f32_e32 v189, 0x3f7ee86f, v201
	v_add_f32_e32 v194, v208, v194
	v_add_f32_e32 v167, v168, v167
	v_fmamk_f32 v168, v84, 0x3e3c28d5, v191
	v_fma_f32 v199, 0xbf7ba420, v89, -v203
	v_fmac_f32_e32 v191, 0xbe3c28d5, v84
	v_fmamk_f32 v203, v89, 0x3dbcf732, v189
	v_mul_f32_e32 v204, 0x3dbcf732, v87
	v_add_f32_e32 v168, v168, v192
	v_add_f32_e32 v186, v199, v186
	;; [unrolled: 1-line block ×4, first 2 shown]
	v_fmamk_f32 v192, v84, 0xbf7ee86f, v204
	v_mul_f32_e32 v194, 0xbeb8f4ab, v201
	v_fma_f32 v189, 0x3dbcf732, v89, -v189
	v_mul_f32_e32 v199, 0x3f6eb680, v87
	v_mul_f32_e32 v201, 0xbf4c4adb, v201
	v_add_f32_e32 v192, v192, v193
	v_fmamk_f32 v193, v89, 0x3f6eb680, v194
	v_fma_f32 v194, 0x3f6eb680, v89, -v194
	v_add_f32_e32 v189, v189, v190
	v_fmamk_f32 v190, v84, 0x3eb8f4ab, v199
	v_add_f32_e32 v196, v196, v205
	v_add_f32_e32 v193, v193, v200
	v_fmamk_f32 v200, v89, 0xbf1a4643, v201
	v_add_f32_e32 v194, v194, v195
	v_sub_f32_e32 v195, v77, v83
	v_add_f32_e32 v190, v190, v202
	v_fmac_f32_e32 v199, 0xbeb8f4ab, v84
	v_mul_f32_e32 v87, 0xbf1a4643, v87
	v_add_f32_e32 v198, v200, v198
	v_add_f32_e32 v200, v82, v76
	v_mul_f32_e32 v202, 0xbf4c4adb, v195
	v_add_f32_e32 v77, v83, v77
	v_fmac_f32_e32 v204, 0x3f7ee86f, v84
	v_add_f32_e32 v196, v199, v196
	v_fmamk_f32 v199, v84, 0x3f4c4adb, v87
	v_fma_f32 v83, 0xbf1a4643, v89, -v201
	v_fmac_f32_e32 v87, 0xbf4c4adb, v84
	v_sub_f32_e32 v76, v76, v82
	v_fmamk_f32 v82, v200, 0xbf1a4643, v202
	v_mul_f32_e32 v84, 0xbf1a4643, v77
	v_add_f32_e32 v83, v83, v97
	v_add_f32_e32 v85, v87, v85
	v_mul_f32_e32 v89, 0x3f763a35, v195
	v_add_f32_e32 v82, v82, v92
	v_fmamk_f32 v87, v76, 0x3f4c4adb, v84
	v_fma_f32 v92, 0xbf1a4643, v200, -v202
	v_fmac_f32_e32 v84, 0xbf4c4adb, v76
	v_mul_f32_e32 v97, 0xbe8c1d8e, v77
	v_add_f32_e32 v88, v199, v88
	v_add_f32_e32 v87, v87, v93
	v_fmamk_f32 v93, v200, 0xbe8c1d8e, v89
	v_add_f32_e32 v91, v92, v91
	v_add_f32_e32 v84, v84, v86
	v_fmamk_f32 v86, v76, 0xbf763a35, v97
	v_mul_f32_e32 v92, 0xbeb8f4ab, v195
	v_fma_f32 v89, 0xbe8c1d8e, v200, -v89
	v_fmac_f32_e32 v97, 0x3f763a35, v76
	v_add_f32_e32 v93, v93, v94
	v_add_f32_e32 v86, v86, v98
	v_fmamk_f32 v94, v200, 0x3f6eb680, v92
	v_mul_f32_e32 v98, 0x3f6eb680, v77
	v_add_f32_e32 v89, v89, v95
	v_add_f32_e32 v95, v97, v99
	v_mul_f32_e32 v97, 0xbf06c442, v195
	v_add_f32_e32 v94, v94, v100
	v_fmamk_f32 v99, v76, 0x3eb8f4ab, v98
	v_fma_f32 v92, 0x3f6eb680, v200, -v92
	v_fmac_f32_e32 v98, 0xbeb8f4ab, v76
	v_fmamk_f32 v100, v200, 0xbf59a7d5, v97
	v_mul_f32_e32 v199, 0xbf59a7d5, v77
	v_add_f32_e32 v99, v99, v101
	v_add_f32_e32 v90, v92, v90
	;; [unrolled: 1-line block ×4, first 2 shown]
	v_fmamk_f32 v98, v76, 0x3f06c442, v199
	v_mul_f32_e32 v100, 0x3f7ee86f, v195
	v_fma_f32 v97, 0xbf59a7d5, v200, -v97
	v_fmac_f32_e32 v199, 0xbf06c442, v76
	v_mul_f32_e32 v101, 0x3dbcf732, v77
	v_add_f32_e32 v98, v98, v103
	v_fmamk_f32 v102, v200, 0x3dbcf732, v100
	v_add_f32_e32 v97, v97, v185
	v_add_f32_e32 v103, v199, v188
	v_fmamk_f32 v185, v76, 0xbf7ee86f, v101
	v_mul_f32_e32 v188, 0xbf2c7751, v195
	v_fma_f32 v100, 0x3dbcf732, v200, -v100
	v_add_f32_e32 v102, v102, v167
	v_fmac_f32_e32 v101, 0x3f7ee86f, v76
	v_add_f32_e32 v167, v185, v168
	v_fmamk_f32 v168, v200, 0x3f3d2fb0, v188
	v_mul_f32_e32 v185, 0x3f3d2fb0, v77
	v_add_f32_e32 v100, v100, v186
	v_mul_f32_e32 v186, 0xbe3c28d5, v195
	v_add_f32_e32 v101, v101, v187
	v_add_f32_e32 v168, v168, v191
	v_fmamk_f32 v187, v76, 0x3f2c7751, v185
	v_fma_f32 v188, 0x3f3d2fb0, v200, -v188
	v_fmamk_f32 v191, v200, 0xbf7ba420, v186
	v_mul_f32_e32 v199, 0xbf7ba420, v77
	v_mul_f32_e32 v77, 0x3ee437d1, v77
	v_add_f32_e32 v187, v187, v192
	v_add_f32_e32 v188, v188, v189
	;; [unrolled: 1-line block ×3, first 2 shown]
	v_fmamk_f32 v191, v76, 0x3e3c28d5, v199
	v_mul_f32_e32 v192, 0x3f65296c, v195
	v_fmamk_f32 v193, v76, 0xbf65296c, v77
	v_sub_f32_e32 v195, v79, v81
	v_add_f32_e32 v79, v81, v79
	v_fmac_f32_e32 v185, 0xbf2c7751, v76
	v_fmac_f32_e32 v199, 0xbe3c28d5, v76
	v_add_f32_e32 v190, v191, v190
	v_fmamk_f32 v191, v200, 0x3ee437d1, v192
	v_add_f32_e32 v88, v193, v88
	v_add_f32_e32 v193, v80, v78
	v_mul_f32_e32 v81, 0xbf06c442, v195
	v_fma_f32 v192, 0x3ee437d1, v200, -v192
	v_fmac_f32_e32 v77, 0x3f65296c, v76
	v_sub_f32_e32 v76, v78, v80
	v_mul_f32_e32 v78, 0xbf59a7d5, v79
	v_fmamk_f32 v80, v193, 0xbf59a7d5, v81
	v_add_f32_e32 v83, v192, v83
	v_add_f32_e32 v77, v77, v85
	v_mul_f32_e32 v85, 0x3f65296c, v195
	v_fmamk_f32 v192, v76, 0x3f06c442, v78
	v_add_f32_e32 v80, v80, v82
	v_fma_f32 v81, 0xbf59a7d5, v193, -v81
	v_fmac_f32_e32 v78, 0xbf06c442, v76
	v_fmamk_f32 v82, v193, 0x3ee437d1, v85
	v_add_f32_e32 v87, v192, v87
	v_mul_f32_e32 v192, 0x3ee437d1, v79
	v_add_f32_e32 v81, v81, v91
	v_fma_f32 v186, 0xbf7ba420, v200, -v186
	v_add_f32_e32 v82, v82, v93
	v_mul_f32_e32 v93, 0x3dbcf732, v79
	v_fmamk_f32 v91, v76, 0xbf65296c, v192
	v_add_f32_e32 v78, v78, v84
	v_mul_f32_e32 v84, 0xbf7ee86f, v195
	v_fma_f32 v85, 0x3ee437d1, v193, -v85
	v_fmac_f32_e32 v192, 0x3f65296c, v76
	v_add_f32_e32 v86, v91, v86
	v_fmamk_f32 v91, v76, 0x3f7ee86f, v93
	v_add_f32_e32 v186, v186, v194
	v_add_f32_e32 v194, v199, v196
	v_fmamk_f32 v196, v193, 0x3dbcf732, v84
	v_add_f32_e32 v85, v85, v89
	v_add_f32_e32 v89, v192, v95
	v_mul_f32_e32 v95, 0x3f4c4adb, v195
	v_fma_f32 v84, 0x3dbcf732, v193, -v84
	v_fmac_f32_e32 v93, 0xbf7ee86f, v76
	v_add_f32_e32 v91, v91, v99
	v_mul_f32_e32 v99, 0xbf1a4643, v79
	v_fmamk_f32 v192, v193, 0xbf1a4643, v95
	v_add_f32_e32 v84, v84, v90
	v_add_f32_e32 v90, v93, v92
	v_mul_f32_e32 v92, 0xbeb8f4ab, v195
	v_fmamk_f32 v93, v76, 0xbf4c4adb, v99
	v_add_f32_e32 v96, v192, v96
	v_fma_f32 v95, 0xbf1a4643, v193, -v95
	v_fmac_f32_e32 v99, 0x3f4c4adb, v76
	v_fmamk_f32 v192, v193, 0x3f6eb680, v92
	v_add_f32_e32 v93, v93, v98
	v_mul_f32_e32 v98, 0x3f6eb680, v79
	v_add_f32_e32 v95, v95, v97
	v_add_f32_e32 v97, v99, v103
	;; [unrolled: 1-line block ×3, first 2 shown]
	v_mul_f32_e32 v102, 0xbe3c28d5, v195
	v_fmamk_f32 v103, v76, 0x3eb8f4ab, v98
	v_fma_f32 v92, 0x3f6eb680, v193, -v92
	v_mul_f32_e32 v192, 0xbf7ba420, v79
	v_add_f32_e32 v197, v204, v197
	v_add_f32_e32 v94, v196, v94
	v_fmac_f32_e32 v98, 0xbeb8f4ab, v76
	v_fmamk_f32 v196, v193, 0xbf7ba420, v102
	v_add_f32_e32 v103, v103, v167
	v_add_f32_e32 v92, v92, v100
	v_fmamk_f32 v100, v76, 0x3e3c28d5, v192
	v_mul_f32_e32 v167, 0x3f2c7751, v195
	v_fma_f32 v102, 0xbf7ba420, v193, -v102
	v_add_f32_e32 v185, v185, v197
	v_add_f32_e32 v98, v98, v101
	;; [unrolled: 1-line block ×3, first 2 shown]
	v_fmac_f32_e32 v192, 0xbe3c28d5, v76
	v_add_f32_e32 v100, v100, v187
	v_mul_f32_e32 v168, 0x3f3d2fb0, v79
	v_fmamk_f32 v187, v193, 0x3f3d2fb0, v167
	v_add_f32_e32 v102, v102, v188
	v_mul_f32_e32 v188, 0xbf763a35, v195
	v_add_f32_e32 v191, v191, v198
	v_add_f32_e32 v185, v192, v185
	v_fmamk_f32 v192, v76, 0xbf2c7751, v168
	v_add_f32_e32 v187, v187, v189
	v_fma_f32 v167, 0x3f3d2fb0, v193, -v167
	v_fmamk_f32 v189, v193, 0xbe8c1d8e, v188
	v_fmac_f32_e32 v168, 0x3f2c7751, v76
	v_add_f32_e32 v190, v192, v190
	v_mul_f32_e32 v79, 0xbe8c1d8e, v79
	v_add_f32_e32 v167, v167, v186
	v_add_f32_e32 v186, v189, v191
	v_sub_f32_e32 v189, v73, v75
	v_add_f32_e32 v192, v75, v73
	v_add_f32_e32 v168, v168, v194
	v_fmamk_f32 v191, v76, 0x3f763a35, v79
	v_fma_f32 v188, 0xbe8c1d8e, v193, -v188
	v_add_f32_e32 v193, v74, v72
	v_mul_f32_e32 v73, 0xbe3c28d5, v189
	v_fmac_f32_e32 v79, 0xbf763a35, v76
	v_sub_f32_e32 v194, v72, v74
	v_mul_f32_e32 v75, 0xbf7ba420, v192
	v_add_f32_e32 v188, v188, v83
	v_fmamk_f32 v72, v193, 0xbf7ba420, v73
	v_add_f32_e32 v195, v79, v77
	v_mul_f32_e32 v77, 0x3eb8f4ab, v189
	v_fmamk_f32 v74, v194, 0x3e3c28d5, v75
	v_fma_f32 v76, 0xbf7ba420, v193, -v73
	v_add_f32_e32 v72, v72, v80
	v_fmac_f32_e32 v75, 0xbe3c28d5, v194
	v_fmamk_f32 v79, v193, 0x3f6eb680, v77
	v_add_f32_e32 v73, v74, v87
	v_mul_f32_e32 v80, 0x3f6eb680, v192
	v_add_f32_e32 v74, v76, v81
	v_mul_f32_e32 v81, 0xbf06c442, v189
	v_add_f32_e32 v75, v75, v78
	v_add_f32_e32 v76, v79, v82
	v_fmamk_f32 v78, v194, 0xbeb8f4ab, v80
	v_fma_f32 v79, 0x3f6eb680, v193, -v77
	v_fmac_f32_e32 v80, 0x3eb8f4ab, v194
	v_fmamk_f32 v82, v193, 0xbf59a7d5, v81
	v_mul_f32_e32 v83, 0xbf59a7d5, v192
	v_add_f32_e32 v77, v78, v86
	v_add_f32_e32 v78, v79, v85
	;; [unrolled: 1-line block ×4, first 2 shown]
	v_fmamk_f32 v82, v194, 0x3f06c442, v83
	v_mul_f32_e32 v85, 0x3f2c7751, v189
	v_fma_f32 v86, 0xbf59a7d5, v193, -v81
	v_mul_f32_e32 v87, 0x3f3d2fb0, v192
	v_add_f32_e32 v191, v191, v88
	v_fmac_f32_e32 v83, 0xbf06c442, v194
	v_add_f32_e32 v81, v82, v91
	v_fmamk_f32 v88, v193, 0x3f3d2fb0, v85
	v_add_f32_e32 v82, v86, v84
	v_fmamk_f32 v86, v194, 0xbf2c7751, v87
	v_mul_f32_e32 v89, 0xbf4c4adb, v189
	v_add_f32_e32 v83, v83, v90
	v_add_f32_e32 v84, v88, v96
	v_fma_f32 v88, 0x3f3d2fb0, v193, -v85
	v_add_f32_e32 v85, v86, v93
	v_fmamk_f32 v90, v193, 0xbf1a4643, v89
	v_mul_f32_e32 v91, 0xbf1a4643, v192
	v_mul_f32_e32 v93, 0x3f65296c, v189
	v_fmac_f32_e32 v87, 0x3f2c7751, v194
	v_add_f32_e32 v86, v88, v95
	v_add_f32_e32 v88, v90, v99
	v_fmamk_f32 v90, v194, 0x3f4c4adb, v91
	v_fma_f32 v94, 0xbf1a4643, v193, -v89
	v_fmamk_f32 v95, v193, 0x3ee437d1, v93
	v_mul_f32_e32 v96, 0x3ee437d1, v192
	v_add_f32_e32 v87, v87, v97
	v_fmac_f32_e32 v91, 0xbf4c4adb, v194
	v_add_f32_e32 v89, v90, v103
	v_add_f32_e32 v90, v94, v92
	;; [unrolled: 1-line block ×3, first 2 shown]
	v_fmamk_f32 v94, v194, 0xbf65296c, v96
	v_mul_f32_e32 v97, 0xbf763a35, v189
	v_fma_f32 v95, 0x3ee437d1, v193, -v93
	v_mul_f32_e32 v99, 0xbe8c1d8e, v192
	v_add_f32_e32 v91, v91, v98
	v_fmac_f32_e32 v96, 0x3f65296c, v194
	v_add_f32_e32 v93, v94, v100
	v_fmamk_f32 v98, v193, 0xbe8c1d8e, v97
	v_add_f32_e32 v94, v95, v102
	v_fmamk_f32 v100, v194, 0x3f763a35, v99
	v_fma_f32 v101, 0xbe8c1d8e, v193, -v97
	v_mul_f32_e32 v102, 0x3f7ee86f, v189
	v_mul_f32_e32 v103, 0x3dbcf732, v192
	v_add_f32_e32 v95, v96, v185
	v_add_f32_e32 v96, v98, v187
	;; [unrolled: 1-line block ×4, first 2 shown]
	v_fmamk_f32 v100, v193, 0x3dbcf732, v102
	v_fmamk_f32 v101, v194, 0xbf7ee86f, v103
	v_fma_f32 v102, 0x3dbcf732, v193, -v102
	v_fmac_f32_e32 v103, 0x3f7ee86f, v194
	v_add_nc_u32_e32 v180, 0x88, v183
	v_add_nc_u32_e32 v179, 0x110, v183
	v_fmac_f32_e32 v99, 0xbf763a35, v194
	v_add_f32_e32 v100, v100, v186
	v_add_f32_e32 v101, v101, v191
	;; [unrolled: 1-line block ×5, first 2 shown]
	s_barrier
	buffer_gl0_inv
	ds_write2_b64 v182, v[66:67], v[72:73] offset1:1
	ds_write2_b64 v182, v[76:77], v[80:81] offset0:2 offset1:3
	ds_write2_b64 v182, v[84:85], v[88:89] offset0:4 offset1:5
	;; [unrolled: 1-line block ×7, first 2 shown]
	ds_write_b64 v182, v[74:75] offset:128
	s_and_saveexec_b32 s0, vcc_lo
	s_cbranch_execz .LBB0_13
; %bb.12:
	v_add_f32_e32 v66, v69, v166
	v_add_f32_e32 v67, v68, v165
	;; [unrolled: 1-line block ×3, first 2 shown]
	v_sub_f32_e32 v81, v64, v143
	v_sub_f32_e32 v223, v65, v144
	v_add_f32_e32 v66, v71, v66
	v_add_f32_e32 v67, v70, v67
	;; [unrolled: 1-line block ×4, first 2 shown]
	v_sub_f32_e32 v85, v68, v26
	v_add_f32_e32 v66, v65, v66
	v_add_f32_e32 v67, v64, v67
	;; [unrolled: 1-line block ×3, first 2 shown]
	v_mul_f32_e32 v226, 0xbf7ba420, v76
	v_sub_f32_e32 v83, v70, v24
	v_add_f32_e32 v66, v148, v66
	v_add_f32_e32 v67, v147, v67
	v_mul_f32_e32 v227, 0x3f6eb680, v78
	v_add_f32_e32 v187, v146, v148
	v_mul_f32_e32 v228, 0xbf59a7d5, v77
	v_add_f32_e32 v66, v150, v66
	v_add_f32_e32 v67, v149, v67
	v_sub_f32_e32 v80, v147, v145
	v_add_f32_e32 v89, v26, v68
	v_sub_f32_e32 v79, v69, v27
	v_add_f32_e32 v66, v154, v66
	v_add_f32_e32 v67, v153, v67
	;; [unrolled: 1-line block ×3, first 2 shown]
	v_mul_f32_e32 v229, 0x3f3d2fb0, v187
	v_fmamk_f32 v68, v81, 0x3f06c442, v228
	v_add_f32_e32 v64, v158, v66
	v_add_f32_e32 v65, v157, v67
	v_fmamk_f32 v66, v85, 0x3e3c28d5, v226
	v_fmamk_f32 v67, v83, 0xbeb8f4ab, v227
	v_sub_f32_e32 v186, v71, v25
	v_add_f32_e32 v64, v164, v64
	v_add_f32_e32 v65, v163, v65
	;; [unrolled: 1-line block ×3, first 2 shown]
	v_sub_f32_e32 v82, v149, v151
	v_add_f32_e32 v199, v156, v154
	v_add_f32_e32 v64, v162, v64
	;; [unrolled: 1-line block ×4, first 2 shown]
	v_mul_f32_e32 v230, 0xbf1a4643, v198
	v_mul_f32_e32 v232, 0xbe3c28d5, v79
	v_add_f32_e32 v64, v160, v64
	v_add_f32_e32 v65, v159, v65
	v_fmamk_f32 v67, v80, 0xbf2c7751, v229
	v_add_f32_e32 v66, v68, v66
	v_add_f32_e32 v86, v24, v70
	;; [unrolled: 1-line block ×4, first 2 shown]
	v_sub_f32_e32 v84, v153, v155
	v_mul_f32_e32 v231, 0x3ee437d1, v199
	v_mul_f32_e32 v233, 0x3eb8f4ab, v186
	v_add_f32_e32 v64, v152, v64
	v_add_f32_e32 v65, v151, v65
	v_fmamk_f32 v69, v82, 0x3f4c4adb, v230
	v_fmamk_f32 v70, v89, 0xbf7ba420, v232
	;; [unrolled: 1-line block ×3, first 2 shown]
	v_add_f32_e32 v64, v146, v64
	v_add_f32_e32 v65, v145, v65
	v_sub_f32_e32 v92, v157, v159
	v_add_f32_e32 v239, v162, v164
	v_sub_f32_e32 v224, v148, v146
	v_add_f32_e32 v64, v144, v64
	v_add_f32_e32 v65, v143, v65
	;; [unrolled: 1-line block ×3, first 2 shown]
	v_mul_f32_e32 v234, 0xbf06c442, v223
	v_sub_f32_e32 v93, v163, v161
	v_add_f32_e32 v25, v25, v64
	v_add_f32_e32 v24, v24, v65
	;; [unrolled: 1-line block ×3, first 2 shown]
	v_fmamk_f32 v65, v86, 0x3f6eb680, v233
	v_add_f32_e32 v66, v165, v70
	v_mul_f32_e32 v237, 0xbe8c1d8e, v144
	v_add_f32_e32 v24, v26, v24
	v_add_f32_e32 v26, v69, v64
	v_add_f32_e32 v25, v27, v25
	v_add_f32_e32 v27, v65, v66
	v_fmamk_f32 v65, v92, 0x3f763a35, v237
	v_mul_f32_e32 v241, 0x3dbcf732, v239
	v_add_f32_e32 v26, v68, v26
	v_add_f32_e32 v88, v145, v147
	v_sub_f32_e32 v225, v150, v152
	v_fmamk_f32 v64, v87, 0xbf59a7d5, v234
	v_mul_f32_e32 v235, 0x3f2c7751, v224
	v_add_f32_e32 v26, v65, v26
	v_fmamk_f32 v65, v93, 0xbf7ee86f, v241
	v_mul_f32_e32 v243, 0xbf59a7d5, v76
	v_mul_f32_e32 v245, 0xbf06c442, v79
	buffer_store_dword v24, off, s[20:23], 0 offset:72 ; 4-byte Folded Spill
	buffer_store_dword v25, off, s[20:23], 0 offset:76 ; 4-byte Folded Spill
	v_add_f32_e32 v90, v151, v149
	v_sub_f32_e32 v154, v154, v156
	v_add_f32_e32 v27, v64, v27
	v_fmamk_f32 v64, v88, 0x3f3d2fb0, v235
	v_mul_f32_e32 v236, 0xbf4c4adb, v225
	v_add_f32_e32 v25, v65, v26
	v_fmamk_f32 v26, v85, 0x3f06c442, v243
	v_mul_f32_e32 v246, 0x3ee437d1, v78
	v_fmamk_f32 v66, v89, 0xbf59a7d5, v245
	v_mul_f32_e32 v247, 0x3f65296c, v186
	v_add_f32_e32 v91, v155, v153
	v_sub_f32_e32 v155, v158, v160
	v_add_f32_e32 v27, v64, v27
	v_fmamk_f32 v64, v90, 0xbf1a4643, v236
	v_mul_f32_e32 v238, 0x3f65296c, v154
	v_add_f32_e32 v26, v166, v26
	v_fmamk_f32 v67, v83, 0xbf65296c, v246
	v_mul_f32_e32 v248, 0x3dbcf732, v77
	;; [unrolled: 3-line block ×3, first 2 shown]
	v_add_f32_e32 v94, v159, v157
	v_add_f32_e32 v27, v64, v27
	v_fmamk_f32 v64, v91, 0x3ee437d1, v238
	v_mul_f32_e32 v240, 0xbf763a35, v155
	v_sub_f32_e32 v242, v164, v162
	v_add_f32_e32 v26, v67, v26
	v_fmamk_f32 v67, v81, 0x3f7ee86f, v248
	v_mul_f32_e32 v250, 0xbf1a4643, v187
	v_add_f32_e32 v66, v68, v66
	v_fmamk_f32 v68, v87, 0x3dbcf732, v249
	v_mul_f32_e32 v251, 0x3f4c4adb, v224
	v_add_f32_e32 v95, v161, v163
	v_add_f32_e32 v27, v64, v27
	v_fmamk_f32 v64, v94, 0xbe8c1d8e, v240
	v_mul_f32_e32 v244, 0x3f7ee86f, v242
	v_add_f32_e32 v26, v67, v26
	v_fmamk_f32 v67, v80, 0xbf4c4adb, v250
	v_mul_f32_e32 v252, 0x3f6eb680, v198
	;; [unrolled: 3-line block ×3, first 2 shown]
	v_add_f32_e32 v64, v64, v27
	v_fmamk_f32 v65, v95, 0x3dbcf732, v244
	v_add_f32_e32 v26, v67, v26
	v_fmamk_f32 v67, v82, 0x3eb8f4ab, v252
	v_mul_f32_e32 v254, 0xbf7ba420, v199
	v_add_f32_e32 v66, v68, v66
	v_fmamk_f32 v68, v90, 0x3f6eb680, v253
	v_mul_f32_e32 v255, 0xbe3c28d5, v154
	v_mov_b32_e32 v98, v170
	buffer_store_dword v106, off, s[20:23], 0 offset:96 ; 4-byte Folded Spill
	buffer_store_dword v107, off, s[20:23], 0 offset:100 ; 4-byte Folded Spill
	v_mov_b32_e32 v106, v172
	v_add_f32_e32 v67, v67, v26
	v_fmamk_f32 v69, v84, 0x3e3c28d5, v254
	v_mov_b32_e32 v99, v171
	v_mul_f32_e32 v171, 0x3f3d2fb0, v144
	v_add_f32_e32 v66, v68, v66
	v_fmamk_f32 v68, v91, 0xbf7ba420, v255
	v_mov_b32_e32 v107, v173
	v_mul_f32_e32 v172, 0x3f2c7751, v155
	v_add_f32_e32 v24, v65, v64
	buffer_store_dword v24, off, s[20:23], 0 offset:80 ; 4-byte Folded Spill
	buffer_store_dword v25, off, s[20:23], 0 offset:84 ; 4-byte Folded Spill
	v_add_f32_e32 v64, v69, v67
	v_fmamk_f32 v65, v92, 0xbf2c7751, v171
	v_add_f32_e32 v66, v68, v66
	v_fmamk_f32 v67, v94, 0x3f3d2fb0, v172
	v_mul_f32_e32 v173, 0xbe8c1d8e, v239
	buffer_store_dword v176, off, s[20:23], 0 offset:52 ; 4-byte Folded Spill
	v_mul_f32_e32 v176, 0xbf763a35, v242
	v_add_f32_e32 v64, v65, v64
	v_add_f32_e32 v66, v67, v66
	v_fmamk_f32 v65, v93, 0x3f763a35, v173
	v_mul_f32_e32 v170, 0xbf1a4643, v76
	v_fmamk_f32 v67, v95, 0xbe8c1d8e, v176
	buffer_store_dword v174, off, s[20:23], 0 offset:40 ; 4-byte Folded Spill
	buffer_store_dword v175, off, s[20:23], 0 offset:44 ; 4-byte Folded Spill
	v_mov_b32_e32 v174, v177
	v_add_f32_e32 v25, v65, v64
	v_mul_f32_e32 v177, 0xbe8c1d8e, v78
	v_add_f32_e32 v24, v67, v66
	v_fmamk_f32 v66, v85, 0x3f4c4adb, v170
	buffer_store_dword v24, off, s[20:23], 0 offset:88 ; 4-byte Folded Spill
	buffer_store_dword v25, off, s[20:23], 0 offset:92 ; 4-byte Folded Spill
	v_add_f32_e32 v66, v166, v66
	v_fmamk_f32 v67, v83, 0xbf763a35, v177
	buffer_store_dword v178, off, s[20:23], 0 offset:60 ; 4-byte Folded Spill
	v_mul_f32_e32 v178, 0x3f6eb680, v77
	buffer_store_dword v179, off, s[20:23], 0 offset:64 ; 4-byte Folded Spill
	v_mul_f32_e32 v179, 0xbf59a7d5, v187
	v_add_f32_e32 v66, v67, v66
	buffer_store_dword v180, off, s[20:23], 0 offset:68 ; 4-byte Folded Spill
	v_fmamk_f32 v67, v81, 0x3eb8f4ab, v178
	v_mul_f32_e32 v180, 0x3dbcf732, v198
	v_mul_f32_e32 v181, 0x3f3d2fb0, v199
	;; [unrolled: 1-line block ×4, first 2 shown]
	v_add_f32_e32 v66, v67, v66
	v_fmamk_f32 v67, v80, 0x3f06c442, v179
	v_mul_f32_e32 v175, 0xbf7ba420, v144
	v_mul_f32_e32 v108, 0xbeb8f4ab, v223
	v_fmamk_f32 v68, v86, 0xbe8c1d8e, v184
	v_mul_f32_e32 v109, 0xbf06c442, v224
	v_add_f32_e32 v66, v67, v66
	v_fmamk_f32 v67, v82, 0xbf7ee86f, v180
	v_mul_f32_e32 v110, 0x3f7ee86f, v225
	v_mul_f32_e32 v111, 0xbf2c7751, v154
	;; [unrolled: 1-line block ×3, first 2 shown]
	buffer_store_dword v113, off, s[20:23], 0 offset:32 ; 4-byte Folded Spill
	v_add_f32_e32 v66, v67, v66
	v_fmamk_f32 v67, v84, 0x3f2c7751, v181
	v_mul_f32_e32 v113, 0x3ee437d1, v239
	buffer_store_dword v114, off, s[20:23], 0 offset:56 ; 4-byte Folded Spill
	v_mul_f32_e32 v114, 0x3f65296c, v242
	v_mov_b32_e32 v26, v133
	v_add_f32_e32 v66, v67, v66
	v_fmamk_f32 v67, v89, 0xbf1a4643, v183
	v_mov_b32_e32 v27, v134
	v_mov_b32_e32 v134, v105
	;; [unrolled: 1-line block ×4, first 2 shown]
	v_add_f32_e32 v67, v165, v67
	v_mov_b32_e32 v105, v141
	v_mov_b32_e32 v141, v130
	;; [unrolled: 1-line block ×4, first 2 shown]
	v_add_f32_e32 v67, v68, v67
	v_fmamk_f32 v68, v92, 0x3e3c28d5, v175
	v_mov_b32_e32 v129, v116
	v_mul_f32_e32 v116, 0xbf59a7d5, v78
	v_mul_f32_e32 v117, 0x3f3d2fb0, v77
	v_mov_b32_e32 v64, v138
	v_add_f32_e32 v66, v68, v66
	v_fmamk_f32 v68, v87, 0x3f6eb680, v108
	v_fmamk_f32 v69, v83, 0xbf06c442, v116
	v_mov_b32_e32 v65, v139
	v_mul_f32_e32 v138, 0x3f06c442, v186
	v_mov_b32_e32 v139, v123
	v_add_f32_e32 v67, v68, v67
	v_fmamk_f32 v68, v88, 0xbf59a7d5, v109
	v_mul_f32_e32 v123, 0x3f6eb680, v144
	v_fmamk_f32 v70, v86, 0xbf59a7d5, v138
	v_mul_f32_e32 v222, 0x3f2c7751, v223
	v_mul_f32_e32 v221, 0xbf65296c, v224
	v_add_f32_e32 v67, v68, v67
	v_fmamk_f32 v68, v90, 0x3dbcf732, v110
	v_mul_f32_e32 v220, 0xbe3c28d5, v225
	v_mul_f32_e32 v214, 0x3f7ee86f, v154
	;; [unrolled: 1-line block ×4, first 2 shown]
	v_add_f32_e32 v67, v68, v67
	v_fmamk_f32 v68, v91, 0x3f3d2fb0, v111
	v_mul_f32_e32 v210, 0xbf4c4adb, v242
	v_mul_f32_e32 v205, 0x3dbcf732, v76
	;; [unrolled: 1-line block ×4, first 2 shown]
	v_add_f32_e32 v67, v68, v67
	v_fmamk_f32 v68, v94, 0xbf7ba420, v112
	v_mul_f32_e32 v204, 0x3f6eb680, v187
	v_fmamk_f32 v71, v83, 0x3e3c28d5, v206
	v_mul_f32_e32 v203, 0x3ee437d1, v198
	v_mul_f32_e32 v202, 0xbf59a7d5, v199
	v_add_f32_e32 v68, v68, v67
	v_fmamk_f32 v67, v93, 0xbf65296c, v113
	v_mul_f32_e32 v212, 0xbf7ee86f, v79
	v_mul_f32_e32 v215, 0xbe3c28d5, v186
	;; [unrolled: 1-line block ×4, first 2 shown]
	v_add_f32_e32 v25, v67, v66
	v_fmamk_f32 v66, v95, 0x3ee437d1, v114
	v_fmamk_f32 v72, v86, 0xbf7ba420, v215
	v_mul_f32_e32 v218, 0x3eb8f4ab, v224
	v_mul_f32_e32 v216, 0xbf65296c, v225
	;; [unrolled: 1-line block ×3, first 2 shown]
	v_add_f32_e32 v24, v66, v68
	buffer_store_dword v24, off, s[20:23], 0 offset:104 ; 4-byte Folded Spill
	buffer_store_dword v25, off, s[20:23], 0 offset:108 ; 4-byte Folded Spill
	;; [unrolled: 1-line block ×3, first 2 shown]
	v_mul_f32_e32 v115, 0xbe8c1d8e, v76
	v_mov_b32_e32 v24, v131
	v_mov_b32_e32 v25, v132
	;; [unrolled: 1-line block ×4, first 2 shown]
	v_fmamk_f32 v68, v85, 0x3f763a35, v115
	v_mul_f32_e32 v118, 0x3ee437d1, v187
	v_mul_f32_e32 v119, 0xbf7ba420, v198
	buffer_store_dword v142, off, s[20:23], 0 offset:48 ; 4-byte Folded Spill
	v_mov_b32_e32 v142, v120
	v_add_f32_e32 v68, v166, v68
	v_mul_f32_e32 v120, 0x3dbcf732, v199
	v_mul_f32_e32 v66, 0xbf763a35, v79
	;; [unrolled: 1-line block ×4, first 2 shown]
	v_add_f32_e32 v68, v69, v68
	v_fmamk_f32 v69, v81, 0xbf2c7751, v117
	v_mul_f32_e32 v201, 0x3f2c7751, v242
	v_mul_f32_e32 v168, 0x3ee437d1, v76
	;; [unrolled: 1-line block ×4, first 2 shown]
	v_add_f32_e32 v68, v69, v68
	v_fmamk_f32 v69, v80, 0x3f65296c, v118
	v_mul_f32_e32 v163, 0xbe8c1d8e, v187
	v_fmamk_f32 v73, v83, 0x3f4c4adb, v185
	v_mul_f32_e32 v162, 0x3f3d2fb0, v198
	v_mul_f32_e32 v161, 0x3f6eb680, v199
	v_add_f32_e32 v68, v69, v68
	v_fmamk_f32 v69, v82, 0x3e3c28d5, v119
	v_mul_f32_e32 v191, 0xbf65296c, v79
	v_mul_f32_e32 v193, 0xbf4c4adb, v186
	;; [unrolled: 1-line block ×4, first 2 shown]
	v_add_f32_e32 v68, v69, v68
	v_fmamk_f32 v69, v84, 0xbf7ee86f, v120
	v_fmamk_f32 v74, v86, 0xbf1a4643, v193
	v_mul_f32_e32 v195, 0x3f763a35, v224
	v_mul_f32_e32 v194, 0x3f2c7751, v225
	v_mul_f32_e32 v192, 0xbeb8f4ab, v154
	v_add_f32_e32 v68, v69, v68
	v_fmamk_f32 v69, v89, 0xbe8c1d8e, v66
	v_mul_f32_e32 v190, 0xbf7ee86f, v155
	v_mul_f32_e32 v189, 0xbf59a7d5, v239
	;; [unrolled: 1-line block ×4, first 2 shown]
	v_add_f32_e32 v69, v165, v69
	v_mul_f32_e32 v145, 0x3dbcf732, v78
	v_mul_f32_e32 v147, 0xbf1a4643, v77
	;; [unrolled: 1-line block ×4, first 2 shown]
	v_add_f32_e32 v69, v70, v69
	v_fmamk_f32 v70, v92, 0x3eb8f4ab, v123
	v_fmamk_f32 v75, v83, 0x3f7ee86f, v145
	v_mul_f32_e32 v101, 0xbe8c1d8e, v199
	v_mul_f32_e32 v188, 0xbf2c7751, v79
	;; [unrolled: 1-line block ×3, first 2 shown]
	v_add_f32_e32 v68, v70, v68
	v_fmamk_f32 v70, v87, 0x3f3d2fb0, v222
	v_mul_f32_e32 v97, 0x3ee437d1, v144
	v_mul_f32_e32 v146, 0xbf4c4adb, v223
	v_fmamk_f32 v96, v86, 0x3dbcf732, v152
	v_mul_f32_e32 v103, 0xbe3c28d5, v224
	v_add_f32_e32 v69, v70, v69
	v_fmamk_f32 v70, v88, 0x3ee437d1, v221
	v_mul_f32_e32 v102, 0x3f06c442, v225
	v_mul_f32_e32 v100, 0x3f763a35, v154
	;; [unrolled: 1-line block ×4, first 2 shown]
	v_add_f32_e32 v69, v70, v69
	v_fmamk_f32 v70, v90, 0xbf7ba420, v220
	v_mul_f32_e32 v159, 0x3f3d2fb0, v78
	v_mul_f32_e32 v156, 0x3ee437d1, v77
	v_fmamk_f32 v76, v85, 0x3eb8f4ab, v167
	v_mul_f32_e32 v137, 0x3eb8f4ab, v242
	v_add_f32_e32 v69, v70, v69
	v_fmamk_f32 v70, v91, 0x3dbcf732, v214
	v_fmamk_f32 v78, v83, 0x3f2c7751, v159
	v_add_f32_e32 v76, v166, v76
	v_fmamk_f32 v77, v81, 0x3f65296c, v156
	v_mul_f32_e32 v153, 0x3dbcf732, v187
	v_add_f32_e32 v69, v70, v69
	v_fmamk_f32 v70, v94, 0x3f6eb680, v211
	v_add_f32_e32 v76, v78, v76
	v_mul_f32_e32 v151, 0xbe8c1d8e, v198
	v_mul_f32_e32 v144, 0xbf59a7d5, v144
	;; [unrolled: 1-line block ×3, first 2 shown]
	v_add_f32_e32 v70, v70, v69
	v_fmamk_f32 v69, v93, 0x3f4c4adb, v209
	v_add_f32_e32 v76, v77, v76
	v_fmamk_f32 v77, v80, 0x3f7ee86f, v153
	v_fmamk_f32 v78, v86, 0x3f3d2fb0, v198
	v_mul_f32_e32 v187, 0xbf65296c, v223
	v_add_f32_e32 v69, v69, v68
	v_fmamk_f32 v68, v95, 0xbf1a4643, v210
	v_add_f32_e32 v76, v77, v76
	v_fmamk_f32 v77, v82, 0x3f763a35, v151
	v_mul_f32_e32 v186, 0xbf7ee86f, v224
	v_mul_f32_e32 v160, 0xbf763a35, v225
	v_add_f32_e32 v68, v68, v70
	v_fmamk_f32 v70, v85, 0x3f7ee86f, v205
	v_add_f32_e32 v76, v77, v76
	v_mul_f32_e32 v158, 0xbf4c4adb, v154
	v_mul_f32_e32 v157, 0xbf06c442, v155
	;; [unrolled: 1-line block ×3, first 2 shown]
	v_add_f32_e32 v70, v166, v70
	v_mul_f32_e32 v155, 0xbe3c28d5, v242
	v_fmac_f32_e32 v226, 0xbe3c28d5, v85
	v_fmac_f32_e32 v227, 0x3eb8f4ab, v83
	v_fma_f32 v223, 0x3f6eb680, v86, -v233
	v_add_f32_e32 v70, v71, v70
	v_fmamk_f32 v71, v81, 0xbf763a35, v207
	v_fmac_f32_e32 v228, 0xbf06c442, v81
	v_fmac_f32_e32 v229, 0x3f2c7751, v80
	;; [unrolled: 1-line block ×4, first 2 shown]
	v_add_f32_e32 v70, v71, v70
	v_fmamk_f32 v71, v80, 0xbeb8f4ab, v204
	v_fmac_f32_e32 v237, 0xbf763a35, v92
	v_fmac_f32_e32 v241, 0x3f7ee86f, v93
	v_fma_f32 v224, 0x3dbcf732, v95, -v244
	v_fmac_f32_e32 v243, 0xbf06c442, v85
	v_add_f32_e32 v70, v71, v70
	v_fmamk_f32 v71, v82, 0x3f65296c, v203
	v_fmac_f32_e32 v246, 0x3f65296c, v83
	v_fmac_f32_e32 v248, 0xbf7ee86f, v81
	v_fma_f32 v225, 0x3ee437d1, v86, -v247
	v_fmac_f32_e32 v250, 0x3f4c4adb, v80
	v_add_f32_e32 v70, v71, v70
	v_fmamk_f32 v71, v84, 0x3f06c442, v202
	v_fmac_f32_e32 v252, 0xbeb8f4ab, v82
	v_fmac_f32_e32 v254, 0xbe3c28d5, v84
	;; [unrolled: 1-line block ×3, first 2 shown]
	v_fma_f32 v172, 0x3f3d2fb0, v94, -v172
	v_add_f32_e32 v70, v71, v70
	v_fmamk_f32 v71, v89, 0x3dbcf732, v212
	v_fmac_f32_e32 v173, 0xbf763a35, v93
	v_fma_f32 v176, 0xbe8c1d8e, v95, -v176
	v_fma_f32 v108, 0x3f6eb680, v87, -v108
	;; [unrolled: 1-line block ×3, first 2 shown]
	v_add_f32_e32 v71, v165, v71
	v_fma_f32 v110, 0x3dbcf732, v90, -v110
	v_fmac_f32_e32 v170, 0xbf4c4adb, v85
	v_fmac_f32_e32 v177, 0x3f763a35, v83
	v_fmac_f32_e32 v178, 0xbeb8f4ab, v81
	v_add_f32_e32 v71, v72, v71
	v_fmamk_f32 v72, v92, 0xbf4c4adb, v208
	v_add_f32_e32 v170, v166, v170
	v_fmac_f32_e32 v115, 0xbf763a35, v85
	v_fmac_f32_e32 v179, 0xbf06c442, v80
	v_fmac_f32_e32 v116, 0x3f06c442, v83
	v_add_f32_e32 v70, v72, v70
	v_fmamk_f32 v72, v87, 0xbe8c1d8e, v219
	v_add_f32_e32 v170, v177, v170
	;; [unrolled: 6-line block ×4, first 2 shown]
	v_fmac_f32_e32 v113, 0x3f65296c, v93
	v_fmac_f32_e32 v120, 0x3f7ee86f, v84
	s_clause 0x1
	buffer_load_dword v178, off, s[20:23], 0 offset:60
	buffer_load_dword v179, off, s[20:23], 0 offset:64
	v_add_f32_e32 v71, v72, v71
	v_fmamk_f32 v72, v91, 0xbf59a7d5, v213
	v_fmac_f32_e32 v123, 0xbeb8f4ab, v92
	v_fmac_f32_e32 v209, 0xbf4c4adb, v93
	v_fmac_f32_e32 v205, 0xbf7ee86f, v85
	v_fmac_f32_e32 v206, 0xbe3c28d5, v83
	v_add_f32_e32 v71, v72, v71
	v_fmamk_f32 v72, v94, 0xbf1a4643, v217
	v_fmac_f32_e32 v207, 0x3f763a35, v81
	v_fmac_f32_e32 v204, 0x3eb8f4ab, v80
	v_fmac_f32_e32 v203, 0xbf65296c, v82
	v_fmac_f32_e32 v202, 0xbf06c442, v84
	v_add_f32_e32 v72, v72, v71
	v_fmamk_f32 v71, v93, 0xbf2c7751, v200
	v_fmac_f32_e32 v208, 0x3f4c4adb, v92
	v_fmac_f32_e32 v200, 0x3f2c7751, v93
	v_fmac_f32_e32 v167, 0xbeb8f4ab, v85
	v_fmac_f32_e32 v185, 0xbf4c4adb, v83
	v_add_f32_e32 v71, v71, v70
	v_fmamk_f32 v70, v95, 0x3f3d2fb0, v201
	v_fmac_f32_e32 v145, 0xbf7ee86f, v83
	v_fmac_f32_e32 v159, 0xbf2c7751, v83
	v_fmac_f32_e32 v156, 0xbf65296c, v81
	v_fmac_f32_e32 v153, 0xbf7ee86f, v80
	v_add_f32_e32 v70, v70, v72
	v_fmamk_f32 v72, v85, 0x3f65296c, v168
	v_fmac_f32_e32 v168, 0xbf65296c, v85
	v_mov_b32_e32 v177, v174
	v_fmac_f32_e32 v151, 0xbf763a35, v82
	v_add_f32_e32 v72, v166, v72
	v_add_f32_e32 v72, v73, v72
	v_fmamk_f32 v73, v81, 0xbe3c28d5, v164
	v_fmac_f32_e32 v164, 0x3e3c28d5, v81
	v_add_f32_e32 v72, v73, v72
	v_fmamk_f32 v73, v80, 0xbf763a35, v163
	v_fmac_f32_e32 v163, 0x3f763a35, v80
	;; [unrolled: 3-line block ×4, first 2 shown]
	v_add_f32_e32 v72, v73, v72
	v_fmamk_f32 v73, v89, 0x3ee437d1, v191
	v_add_f32_e32 v73, v165, v73
	v_add_f32_e32 v73, v74, v73
	v_fmamk_f32 v74, v92, 0x3f7ee86f, v182
	v_fmac_f32_e32 v182, 0xbf7ee86f, v92
	v_add_f32_e32 v72, v74, v72
	v_fmamk_f32 v74, v87, 0xbf7ba420, v197
	v_add_f32_e32 v73, v74, v73
	v_fmamk_f32 v74, v88, 0xbe8c1d8e, v195
	;; [unrolled: 2-line block ×6, first 2 shown]
	v_fmac_f32_e32 v189, 0xbf06c442, v93
	v_add_f32_e32 v73, v73, v72
	v_fmamk_f32 v72, v95, 0xbf59a7d5, v196
	v_add_f32_e32 v72, v72, v74
	v_fmamk_f32 v74, v85, 0x3f2c7751, v150
	v_fmac_f32_e32 v150, 0xbf2c7751, v85
	v_fma_f32 v85, 0x3f3d2fb0, v89, -v188
	v_add_f32_e32 v74, v166, v74
	v_add_f32_e32 v83, v165, v85
	v_fma_f32 v85, 0x3dbcf732, v86, -v152
	v_add_f32_e32 v74, v75, v74
	v_fmamk_f32 v75, v81, 0x3f4c4adb, v147
	v_fmac_f32_e32 v147, 0xbf4c4adb, v81
	v_add_f32_e32 v83, v85, v83
	v_add_f32_e32 v74, v75, v74
	v_fmamk_f32 v75, v80, 0x3e3c28d5, v149
	v_fmac_f32_e32 v149, 0xbe3c28d5, v80
	v_add_f32_e32 v74, v75, v74
	v_fmamk_f32 v75, v82, 0xbf06c442, v143
	v_fmac_f32_e32 v143, 0x3f06c442, v82
	;; [unrolled: 3-line block ×3, first 2 shown]
	v_add_f32_e32 v74, v75, v74
	v_fmamk_f32 v75, v89, 0x3f3d2fb0, v188
	v_add_f32_e32 v75, v165, v75
	v_add_f32_e32 v75, v96, v75
	v_fmamk_f32 v96, v92, 0xbf65296c, v97
	v_fmac_f32_e32 v97, 0x3f65296c, v92
	v_add_f32_e32 v74, v96, v74
	v_fmamk_f32 v96, v87, 0xbf1a4643, v146
	v_add_f32_e32 v75, v96, v75
	v_fmamk_f32 v96, v88, 0xbf7ba420, v103
	;; [unrolled: 2-line block ×5, first 2 shown]
	v_add_f32_e32 v148, v96, v75
	v_mul_f32_e32 v96, 0x3f6eb680, v239
	v_fmamk_f32 v75, v93, 0xbeb8f4ab, v96
	v_fmac_f32_e32 v96, 0x3eb8f4ab, v93
	v_add_f32_e32 v75, v75, v74
	v_fmamk_f32 v74, v95, 0x3f6eb680, v137
	v_add_f32_e32 v74, v74, v148
	v_mul_f32_e32 v148, 0xbf1a4643, v199
	v_mul_f32_e32 v199, 0xbeb8f4ab, v79
	v_fma_f32 v79, 0xbf7ba420, v89, -v232
	v_fmamk_f32 v77, v84, 0x3f4c4adb, v148
	v_fmac_f32_e32 v148, 0xbf4c4adb, v84
	v_add_f32_e32 v79, v165, v79
	v_fma_f32 v84, 0x3ee437d1, v94, -v67
	v_add_f32_e32 v76, v77, v76
	v_fmamk_f32 v77, v92, 0x3f06c442, v144
	v_add_f32_e32 v79, v223, v79
	v_fma_f32 v223, 0xbf59a7d5, v87, -v234
	v_fmac_f32_e32 v144, 0xbf06c442, v92
	v_add_f32_e32 v76, v77, v76
	v_fmamk_f32 v77, v89, 0x3f6eb680, v199
	v_add_f32_e32 v79, v223, v79
	v_fma_f32 v223, 0x3f3d2fb0, v88, -v235
	v_add_f32_e32 v77, v165, v77
	v_add_f32_e32 v79, v223, v79
	v_fma_f32 v223, 0xbf1a4643, v90, -v236
	v_add_f32_e32 v77, v78, v77
	v_fmamk_f32 v78, v87, 0x3ee437d1, v187
	v_add_f32_e32 v79, v223, v79
	v_fma_f32 v223, 0x3ee437d1, v91, -v238
	v_add_f32_e32 v77, v78, v77
	v_fmamk_f32 v78, v88, 0x3dbcf732, v186
	;; [unrolled: 4-line block ×3, first 2 shown]
	v_add_f32_e32 v223, v223, v79
	v_add_f32_e32 v77, v78, v77
	v_fmamk_f32 v78, v91, 0xbf1a4643, v158
	v_add_f32_e32 v77, v78, v77
	v_fmamk_f32 v78, v94, 0xbf59a7d5, v157
	;; [unrolled: 2-line block ×3, first 2 shown]
	v_fmac_f32_e32 v154, 0xbe3c28d5, v93
	v_add_f32_e32 v77, v77, v76
	v_fmamk_f32 v76, v95, 0xbf7ba420, v155
	v_add_f32_e32 v76, v76, v78
	v_add_f32_e32 v78, v166, v226
	;; [unrolled: 1-line block ×11, first 2 shown]
	v_fma_f32 v224, 0xbf59a7d5, v89, -v245
	v_add_f32_e32 v223, v246, v223
	v_add_f32_e32 v224, v165, v224
	;; [unrolled: 1-line block ×4, first 2 shown]
	v_fma_f32 v225, 0x3dbcf732, v87, -v249
	v_add_f32_e32 v223, v250, v223
	v_add_f32_e32 v224, v225, v224
	v_fma_f32 v225, 0xbf1a4643, v88, -v251
	v_add_f32_e32 v223, v252, v223
	v_add_f32_e32 v224, v225, v224
	;; [unrolled: 3-line block ×3, first 2 shown]
	v_add_f32_e32 v171, v171, v223
	v_fma_f32 v223, 0xbf7ba420, v91, -v255
	v_add_f32_e32 v223, v223, v224
	v_add_f32_e32 v224, v173, v171
	v_fma_f32 v171, 0xbf1a4643, v89, -v183
	v_add_f32_e32 v172, v172, v223
	v_add_f32_e32 v171, v165, v171
	;; [unrolled: 1-line block ×3, first 2 shown]
	v_fma_f32 v172, 0xbe8c1d8e, v86, -v184
	buffer_load_dword v176, off, s[20:23], 0 offset:52 ; 4-byte Folded Reload
	v_add_f32_e32 v171, v172, v171
	v_mov_b32_e32 v173, v107
	v_mov_b32_e32 v172, v106
	v_add_f32_e32 v108, v108, v171
	v_add_f32_e32 v108, v109, v108
	;; [unrolled: 1-line block ×3, first 2 shown]
	buffer_load_dword v180, off, s[20:23], 0 offset:68 ; 4-byte Folded Reload
	v_mov_b32_e32 v171, v99
	v_mov_b32_e32 v170, v98
	v_add_f32_e32 v108, v110, v108
	v_fma_f32 v110, 0x3f3d2fb0, v91, -v111
	v_add_f32_e32 v109, v181, v109
	v_add_f32_e32 v108, v110, v108
	v_fma_f32 v110, 0xbf7ba420, v94, -v112
	v_add_f32_e32 v109, v175, v109
	v_add_f32_e32 v108, v110, v108
	v_fma_f32 v110, 0x3ee437d1, v95, -v114
	buffer_load_dword v114, off, s[20:23], 0 offset:56 ; 4-byte Folded Reload
	v_add_f32_e32 v226, v113, v109
	buffer_load_dword v113, off, s[20:23], 0 offset:32 ; 4-byte Folded Reload
	v_fma_f32 v109, 0xbe8c1d8e, v89, -v66
	v_add_f32_e32 v225, v110, v108
	v_add_f32_e32 v108, v166, v115
	buffer_load_dword v115, off, s[20:23], 0 offset:36 ; 4-byte Folded Reload
	v_fma_f32 v110, 0xbf59a7d5, v86, -v138
	v_add_f32_e32 v109, v165, v109
	v_add_f32_e32 v108, v116, v108
	;; [unrolled: 1-line block ×3, first 2 shown]
	v_fma_f32 v110, 0x3f3d2fb0, v87, -v222
	v_add_f32_e32 v108, v117, v108
	v_mov_b32_e32 v116, v129
	v_mov_b32_e32 v117, v130
	;; [unrolled: 1-line block ×3, first 2 shown]
	v_add_f32_e32 v109, v110, v109
	v_add_f32_e32 v108, v118, v108
	v_fma_f32 v110, 0x3ee437d1, v88, -v221
	v_mov_b32_e32 v130, v141
	v_mov_b32_e32 v141, v105
	;; [unrolled: 1-line block ×3, first 2 shown]
	v_add_f32_e32 v108, v119, v108
	v_mov_b32_e32 v118, v131
	v_mov_b32_e32 v119, v132
	;; [unrolled: 1-line block ×4, first 2 shown]
	v_add_f32_e32 v108, v120, v108
	v_mov_b32_e32 v120, v142
	s_clause 0x2
	buffer_load_dword v142, off, s[20:23], 0 offset:48
	buffer_load_dword v24, off, s[20:23], 0 offset:96
	buffer_load_dword v25, off, s[20:23], 0 offset:100
	v_add_f32_e32 v109, v110, v109
	v_fma_f32 v110, 0xbf7ba420, v90, -v220
	v_add_f32_e32 v108, v123, v108
	v_mov_b32_e32 v104, v133
	v_mov_b32_e32 v105, v134
	v_mov_b32_e32 v134, v27
	v_add_f32_e32 v109, v110, v109
	v_fma_f32 v110, 0x3dbcf732, v91, -v214
	v_mov_b32_e32 v133, v26
	v_mov_b32_e32 v123, v139
	;; [unrolled: 1-line block ×4, first 2 shown]
	v_add_f32_e32 v109, v110, v109
	v_fma_f32 v110, 0x3f6eb680, v94, -v211
	v_add_f32_e32 v109, v110, v109
	v_fma_f32 v110, 0xbf1a4643, v95, -v210
	v_add_f32_e32 v210, v209, v108
	v_add_f32_e32 v108, v166, v205
	;; [unrolled: 1-line block ×3, first 2 shown]
	v_fma_f32 v109, 0x3dbcf732, v89, -v212
	v_fma_f32 v110, 0xbf7ba420, v86, -v215
	v_add_f32_e32 v108, v206, v108
	v_add_f32_e32 v109, v165, v109
	v_add_f32_e32 v108, v207, v108
	v_add_f32_e32 v109, v110, v109
	v_fma_f32 v110, 0xbe8c1d8e, v87, -v219
	v_add_f32_e32 v108, v204, v108
	v_add_f32_e32 v109, v110, v109
	v_fma_f32 v110, 0x3f6eb680, v88, -v218
	v_add_f32_e32 v108, v203, v108
	v_add_f32_e32 v109, v110, v109
	;; [unrolled: 3-line block ×4, first 2 shown]
	v_fma_f32 v110, 0xbf1a4643, v94, -v217
	v_add_f32_e32 v109, v110, v109
	v_fma_f32 v110, 0x3f3d2fb0, v95, -v201
	v_add_f32_e32 v201, v200, v108
	v_add_f32_e32 v108, v166, v168
	;; [unrolled: 1-line block ×3, first 2 shown]
	v_fma_f32 v109, 0x3ee437d1, v89, -v191
	v_fma_f32 v89, 0x3f6eb680, v89, -v199
	;; [unrolled: 1-line block ×4, first 2 shown]
	v_add_f32_e32 v108, v185, v108
	v_add_f32_e32 v109, v165, v109
	;; [unrolled: 1-line block ×5, first 2 shown]
	v_fma_f32 v110, 0xbf7ba420, v87, -v197
	v_add_f32_e32 v81, v86, v89
	v_fma_f32 v86, 0x3ee437d1, v87, -v187
	v_fma_f32 v89, 0xbf7ba420, v88, -v103
	v_add_f32_e32 v108, v163, v108
	v_add_f32_e32 v109, v110, v109
	v_fma_f32 v110, 0xbe8c1d8e, v88, -v195
	v_add_f32_e32 v80, v86, v81
	v_fma_f32 v81, 0x3dbcf732, v88, -v186
	;; [unrolled: 2-line block ×4, first 2 shown]
	v_add_f32_e32 v80, v81, v80
	v_add_f32_e32 v108, v161, v108
	v_fma_f32 v81, 0xbe8c1d8e, v90, -v160
	v_add_f32_e32 v109, v110, v109
	v_fma_f32 v110, 0x3f6eb680, v91, -v192
	v_add_f32_e32 v108, v182, v108
	v_add_f32_e32 v80, v81, v80
	v_fma_f32 v81, 0xbf1a4643, v91, -v158
	v_add_f32_e32 v109, v110, v109
	v_fma_f32 v110, 0x3dbcf732, v94, -v190
	v_add_f32_e32 v162, v189, v108
	v_add_f32_e32 v108, v166, v150
	;; [unrolled: 1-line block ×3, first 2 shown]
	v_fma_f32 v81, 0xbf59a7d5, v94, -v157
	v_add_f32_e32 v109, v110, v109
	v_fma_f32 v110, 0xbf59a7d5, v95, -v196
	v_add_f32_e32 v108, v145, v108
	v_add_f32_e32 v161, v110, v109
	;; [unrolled: 1-line block ×5, first 2 shown]
	v_fma_f32 v109, 0xbf1a4643, v87, -v146
	v_add_f32_e32 v108, v149, v108
	v_add_f32_e32 v85, v156, v85
	v_add_f32_e32 v83, v109, v83
	v_add_f32_e32 v108, v143, v108
	v_add_f32_e32 v85, v153, v85
	v_add_f32_e32 v83, v89, v83
	v_add_f32_e32 v87, v101, v108
	v_add_f32_e32 v85, v151, v85
	v_add_f32_e32 v83, v86, v83
	v_fma_f32 v86, 0xbe8c1d8e, v91, -v100
	v_add_f32_e32 v82, v97, v87
	v_fma_f32 v87, 0xbf7ba420, v95, -v155
	v_add_f32_e32 v85, v148, v85
	v_add_f32_e32 v83, v86, v83
	v_add_f32_e32 v86, v81, v80
	v_add_f32_e32 v81, v96, v82
	v_add_f32_e32 v85, v144, v85
	v_add_f32_e32 v83, v84, v83
	v_fma_f32 v84, 0x3f6eb680, v95, -v137
	v_or_b32_e32 v137, 0x50, v120
	v_add_f32_e32 v82, v87, v86
	v_add_f32_e32 v80, v84, v83
	;; [unrolled: 1-line block ×3, first 2 shown]
	s_waitcnt vmcnt(0)
	v_lshl_add_u32 v88, v25, 3, v24
	s_clause 0x1
	buffer_load_dword v24, off, s[20:23], 0 offset:72
	buffer_load_dword v25, off, s[20:23], 0 offset:76
	s_waitcnt vmcnt(0)
	ds_write2_b64 v88, v[24:25], v[76:77] offset1:1
	ds_write2_b64 v88, v[74:75], v[72:73] offset0:2 offset1:3
	ds_write2_b64 v88, v[70:71], v[68:69] offset0:4 offset1:5
	s_clause 0x3
	buffer_load_dword v24, off, s[20:23], 0 offset:88
	buffer_load_dword v25, off, s[20:23], 0 offset:92
	;; [unrolled: 1-line block ×4, first 2 shown]
	s_waitcnt vmcnt(0)
	ds_write2_b64 v88, v[26:27], v[24:25] offset0:6 offset1:7
	s_clause 0x3
	buffer_load_dword v174, off, s[20:23], 0 offset:40
	buffer_load_dword v175, off, s[20:23], 0 offset:44
	;; [unrolled: 1-line block ×4, first 2 shown]
	s_waitcnt vmcnt(0)
	ds_write2_b64 v88, v[24:25], v[78:79] offset0:8 offset1:9
	ds_write2_b64 v88, v[223:224], v[225:226] offset0:10 offset1:11
	;; [unrolled: 1-line block ×4, first 2 shown]
	ds_write_b64 v88, v[82:83] offset:128
.LBB0_13:
	s_or_b32 exec_lo, exec_lo, s0
	s_waitcnt lgkmcnt(0)
	s_waitcnt_vscnt null, 0x0
	s_barrier
	buffer_gl0_inv
	ds_read2_b64 v[64:67], v169 offset0:102 offset1:119
	ds_read2_b64 v[68:71], v169 offset0:238 offset1:255
	;; [unrolled: 1-line block ×3, first 2 shown]
	ds_read2_b64 v[76:79], v169 offset1:17
	ds_read2_b64 v[80:83], v169 offset0:34 offset1:51
	v_add_nc_u32_e32 v24, 0x800, v169
	ds_read2_b64 v[84:87], v169 offset0:170 offset1:187
	ds_read2_b64 v[88:91], v169 offset0:68 offset1:85
	;; [unrolled: 1-line block ×3, first 2 shown]
	ds_read_b64 v[25:26], v169 offset:2720
	ds_read2_b64 v[96:99], v24 offset0:16 offset1:33
	ds_read2_b64 v[100:103], v24 offset0:50 offset1:67
	s_waitcnt lgkmcnt(0)
	s_barrier
	buffer_gl0_inv
	s_mov_b32 s2, 0x16f26017
	s_mov_b32 s3, 0x3f66f260
	s_mul_hi_u32 s1, s8, 21
	v_mul_f32_e32 v27, v1, v67
	v_mul_f32_e32 v108, v1, v66
	;; [unrolled: 1-line block ×7, first 2 shown]
	v_fmac_f32_e32 v27, v0, v66
	v_fma_f32 v66, v0, v67, -v108
	v_fmac_f32_e32 v109, v2, v68
	v_fma_f32 v67, v2, v69, -v110
	;; [unrolled: 2-line block ×3, first 2 shown]
	v_mul_f32_e32 v69, v21, v75
	v_mul_f32_e32 v0, v21, v74
	;; [unrolled: 1-line block ×4, first 2 shown]
	v_fmac_f32_e32 v112, v2, v70
	v_mul_f32_e32 v70, v23, v97
	v_fmac_f32_e32 v69, v20, v74
	v_fma_f32 v20, v20, v75, -v0
	v_mul_f32_e32 v23, v17, v85
	v_mul_f32_e32 v0, v17, v84
	v_fma_f32 v17, v22, v97, -v1
	v_mul_f32_e32 v1, v19, v98
	v_fmac_f32_e32 v70, v22, v96
	v_mul_f32_e32 v22, v19, v99
	v_fma_f32 v19, v16, v85, -v0
	v_mul_f32_e32 v0, v13, v86
	v_fma_f32 v72, v18, v99, -v1
	;; [unrolled: 2-line block ×3, first 2 shown]
	v_fmac_f32_e32 v23, v16, v84
	v_mul_f32_e32 v71, v13, v87
	v_fma_f32 v74, v12, v87, -v0
	v_mul_f32_e32 v75, v9, v93
	v_mul_f32_e32 v0, v9, v92
	v_fma_f32 v84, v14, v101, -v1
	v_mul_f32_e32 v1, v11, v102
	v_fmac_f32_e32 v71, v12, v86
	v_fmac_f32_e32 v75, v8, v92
	v_fma_f32 v86, v8, v93, -v0
	v_mul_f32_e32 v87, v5, v95
	v_mul_f32_e32 v0, v5, v94
	v_fma_f32 v92, v10, v103, -v1
	v_mul_f32_e32 v1, v7, v25
	v_mul_f32_e32 v85, v11, v103
	;; [unrolled: 1-line block ×3, first 2 shown]
	v_fmac_f32_e32 v87, v4, v94
	v_fma_f32 v94, v4, v95, -v0
	v_add_f32_e32 v0, v27, v109
	v_fma_f32 v95, v6, v26, -v1
	v_add_f32_e32 v1, v66, v67
	v_add_f32_e32 v7, v111, v112
	v_fmac_f32_e32 v85, v10, v102
	v_fmac_f32_e32 v93, v6, v25
	v_fma_f32 v0, -0.5, v0, v76
	v_sub_f32_e32 v3, v66, v67
	v_add_f32_e32 v5, v77, v66
	v_fma_f32 v1, -0.5, v1, v77
	v_sub_f32_e32 v6, v27, v109
	v_add_f32_e32 v8, v78, v111
	;; [unrolled: 3-line block ×3, first 2 shown]
	v_fmamk_f32 v4, v3, 0xbf5db3d7, v0
	v_fmac_f32_e32 v0, 0x3f5db3d7, v3
	v_add_f32_e32 v3, v5, v67
	v_fmamk_f32 v5, v6, 0x3f5db3d7, v1
	v_fmac_f32_e32 v1, 0xbf5db3d7, v6
	v_add_f32_e32 v9, v68, v21
	v_add_f32_e32 v6, v8, v112
	v_fmamk_f32 v8, v7, 0xbf5db3d7, v78
	v_fmac_f32_e32 v78, 0x3f5db3d7, v7
	v_add_f32_e32 v7, v10, v21
	v_add_f32_e32 v10, v69, v70
	v_fmac_f32_e32 v22, v18, v98
	v_mul_f32_e32 v73, v15, v101
	v_fmac_f32_e32 v79, -0.5, v9
	v_sub_f32_e32 v11, v111, v112
	v_fma_f32 v10, -0.5, v10, v80
	v_sub_f32_e32 v13, v20, v17
	v_add_f32_e32 v15, v81, v20
	v_fmac_f32_e32 v73, v14, v100
	v_fmamk_f32 v9, v11, 0x3f5db3d7, v79
	v_fmac_f32_e32 v79, 0xbf5db3d7, v11
	v_add_f32_e32 v11, v20, v17
	v_fmamk_f32 v14, v13, 0xbf5db3d7, v10
	v_fmac_f32_e32 v10, 0x3f5db3d7, v13
	v_add_f32_e32 v13, v15, v17
	v_add_f32_e32 v17, v23, v22
	;; [unrolled: 1-line block ×4, first 2 shown]
	v_fma_f32 v11, -0.5, v11, v81
	v_sub_f32_e32 v16, v69, v70
	v_add_f32_e32 v18, v82, v23
	v_fma_f32 v82, -0.5, v17, v82
	v_sub_f32_e32 v17, v19, v72
	v_add_f32_e32 v19, v83, v19
	v_fmac_f32_e32 v83, -0.5, v20
	v_sub_f32_e32 v20, v23, v22
	v_add_f32_e32 v21, v71, v73
	v_add_f32_e32 v23, v74, v84
	;; [unrolled: 1-line block ×4, first 2 shown]
	v_fmamk_f32 v15, v16, 0x3f5db3d7, v11
	v_fmac_f32_e32 v11, 0xbf5db3d7, v16
	v_add_f32_e32 v16, v18, v22
	v_fmamk_f32 v18, v17, 0xbf5db3d7, v82
	v_fmac_f32_e32 v82, 0x3f5db3d7, v17
	v_add_f32_e32 v17, v19, v72
	v_fmamk_f32 v19, v20, 0x3f5db3d7, v83
	v_fmac_f32_e32 v83, 0xbf5db3d7, v20
	v_fma_f32 v20, -0.5, v21, v88
	v_sub_f32_e32 v26, v74, v84
	v_fma_f32 v21, -0.5, v23, v89
	v_sub_f32_e32 v66, v71, v73
	v_add_f32_e32 v23, v27, v84
	v_add_f32_e32 v27, v75, v85
	v_add_f32_e32 v67, v90, v75
	v_add_f32_e32 v68, v86, v92
	v_add_f32_e32 v12, v12, v70
	v_fmamk_f32 v25, v26, 0xbf5db3d7, v20
	v_fmac_f32_e32 v20, 0x3f5db3d7, v26
	v_fmamk_f32 v26, v66, 0x3f5db3d7, v21
	v_fmac_f32_e32 v21, 0xbf5db3d7, v66
	v_fma_f32 v90, -0.5, v27, v90
	v_sub_f32_e32 v27, v86, v92
	v_add_f32_e32 v66, v67, v85
	v_add_f32_e32 v67, v91, v86
	v_fmac_f32_e32 v91, -0.5, v68
	v_sub_f32_e32 v70, v75, v85
	v_add_f32_e32 v22, v88, v71
	v_fmamk_f32 v68, v27, 0xbf5db3d7, v90
	v_fmac_f32_e32 v90, 0x3f5db3d7, v27
	v_add_f32_e32 v27, v87, v93
	v_fmamk_f32 v69, v70, 0x3f5db3d7, v91
	v_fmac_f32_e32 v91, 0xbf5db3d7, v70
	v_add_f32_e32 v70, v94, v95
	v_add_f32_e32 v2, v2, v109
	;; [unrolled: 1-line block ×4, first 2 shown]
	v_fma_f32 v64, -0.5, v27, v64
	v_sub_f32_e32 v27, v94, v95
	v_add_f32_e32 v73, v65, v94
	v_fmac_f32_e32 v65, -0.5, v70
	v_sub_f32_e32 v74, v87, v93
	v_add_f32_e32 v67, v67, v92
	ds_write2_b64 v169, v[2:3], v[4:5] offset1:17
	ds_write2_b64 v169, v[0:1], v[6:7] offset0:34 offset1:51
	ds_write2_b64 v169, v[8:9], v[78:79] offset0:68 offset1:85
	;; [unrolled: 1-line block ×3, first 2 shown]
	ds_write_b64 v178, v[10:11] offset:1088
	ds_write2_b64 v177, v[16:17], v[18:19] offset0:153 offset1:170
	v_add_nc_u32_e32 v0, 0x400, v142
	v_add_f32_e32 v70, v71, v93
	v_fmamk_f32 v72, v27, 0xbf5db3d7, v64
	v_fmac_f32_e32 v64, 0x3f5db3d7, v27
	v_add_f32_e32 v71, v73, v95
	v_fmamk_f32 v73, v74, 0x3f5db3d7, v65
	v_fmac_f32_e32 v65, 0xbf5db3d7, v74
	v_add_nc_u32_e32 v1, 0x800, v123
	ds_write_b64 v177, v[82:83] offset:1496
	ds_write2_b64 v176, v[22:23], v[25:26] offset0:204 offset1:221
	ds_write_b64 v176, v[20:21] offset:1904
	ds_write2_b64 v0, v[66:67], v[68:69] offset0:127 offset1:144
	ds_write_b64 v142, v[90:91] offset:2312
	ds_write2_b64 v1, v[70:71], v[72:73] offset0:50 offset1:67
	ds_write_b64 v123, v[64:65] offset:2720
	s_waitcnt lgkmcnt(0)
	s_barrier
	buffer_gl0_inv
	ds_read2_b64 v[0:3], v169 offset0:34 offset1:51
	ds_read2_b64 v[4:7], v169 offset0:102 offset1:119
	;; [unrolled: 1-line block ×4, first 2 shown]
	ds_read2_b64 v[16:19], v169 offset1:17
	ds_read2_b64 v[20:23], v169 offset0:238 offset1:255
	ds_read2_b64 v[64:67], v24 offset0:50 offset1:67
	;; [unrolled: 1-line block ×5, first 2 shown]
	ds_read_b64 v[25:26], v169 offset:2720
	s_waitcnt lgkmcnt(10)
	v_mul_f32_e32 v27, v57, v3
	s_waitcnt lgkmcnt(8)
	v_mul_f32_e32 v80, v45, v11
	v_mul_f32_e32 v45, v45, v10
	v_fmac_f32_e32 v27, v56, v2
	v_mul_f32_e32 v2, v57, v2
	v_mul_f32_e32 v57, v59, v5
	;; [unrolled: 1-line block ×3, first 2 shown]
	v_fmac_f32_e32 v80, v44, v10
	s_waitcnt lgkmcnt(7)
	v_mul_f32_e32 v10, v47, v12
	v_fma_f32 v2, v56, v3, -v2
	v_fmac_f32_e32 v57, v58, v4
	v_fma_f32 v3, v58, v5, -v59
	v_fma_f32 v4, v44, v11, -v45
	v_mul_f32_e32 v5, v47, v13
	s_waitcnt lgkmcnt(5)
	v_mul_f32_e32 v11, v29, v23
	v_mul_f32_e32 v29, v29, v22
	s_waitcnt lgkmcnt(4)
	v_mul_f32_e32 v44, v31, v65
	v_fma_f32 v10, v46, v13, -v10
	v_fmac_f32_e32 v5, v46, v12
	v_fmac_f32_e32 v11, v28, v22
	v_fma_f32 v12, v28, v23, -v29
	v_mul_f32_e32 v28, v63, v7
	v_mul_f32_e32 v29, v63, v6
	;; [unrolled: 1-line block ×4, first 2 shown]
	s_waitcnt lgkmcnt(1)
	v_mul_f32_e32 v45, v33, v77
	v_fmac_f32_e32 v28, v62, v6
	v_fma_f32 v29, v62, v7, -v29
	v_mul_f32_e32 v6, v49, v72
	v_mul_f32_e32 v7, v51, v14
	v_fmac_f32_e32 v31, v50, v14
	v_fmac_f32_e32 v45, v32, v76
	v_fmac_f32_e32 v44, v30, v64
	v_fma_f32 v46, v48, v73, -v6
	v_fma_f32 v47, v50, v15, -v7
	v_mul_f32_e32 v6, v33, v76
	v_mul_f32_e32 v33, v35, v67
	;; [unrolled: 1-line block ×4, first 2 shown]
	v_fma_f32 v13, v30, v65, -v13
	v_fma_f32 v32, v32, v77, -v6
	v_fmac_f32_e32 v33, v34, v66
	v_fma_f32 v34, v34, v67, -v7
	v_mul_f32_e32 v6, v55, v8
	v_mul_f32_e32 v7, v41, v74
	;; [unrolled: 1-line block ×5, first 2 shown]
	v_fma_f32 v51, v54, v9, -v6
	v_fmac_f32_e32 v50, v40, v74
	v_fma_f32 v40, v40, v75, -v7
	v_mul_f32_e32 v6, v43, v20
	v_mul_f32_e32 v43, v37, v79
	v_mul_f32_e32 v7, v37, v78
	v_mul_f32_e32 v14, v53, v70
	v_fmac_f32_e32 v49, v54, v8
	s_waitcnt lgkmcnt(0)
	v_mul_f32_e32 v37, v39, v26
	v_mul_f32_e32 v8, v39, v25
	v_fma_f32 v39, v42, v21, -v6
	v_fmac_f32_e32 v43, v36, v78
	v_fma_f32 v36, v36, v79, -v7
	v_add_f32_e32 v6, v27, v44
	v_add_f32_e32 v7, v2, v13
	v_sub_f32_e32 v2, v2, v13
	v_add_f32_e32 v9, v57, v11
	v_add_f32_e32 v13, v3, v12
	v_fmac_f32_e32 v30, v48, v72
	v_fma_f32 v48, v52, v71, -v14
	v_sub_f32_e32 v11, v57, v11
	v_sub_f32_e32 v3, v3, v12
	v_add_f32_e32 v12, v80, v5
	v_add_f32_e32 v14, v4, v10
	v_sub_f32_e32 v5, v5, v80
	v_sub_f32_e32 v4, v10, v4
	v_add_f32_e32 v10, v9, v6
	v_add_f32_e32 v15, v13, v7
	v_fmac_f32_e32 v41, v42, v20
	v_fmac_f32_e32 v37, v38, v25
	v_fma_f32 v38, v38, v26, -v8
	v_sub_f32_e32 v8, v27, v44
	v_sub_f32_e32 v20, v9, v6
	;; [unrolled: 1-line block ×7, first 2 shown]
	v_add_f32_e32 v25, v5, v11
	v_add_f32_e32 v26, v4, v3
	v_sub_f32_e32 v27, v5, v11
	v_sub_f32_e32 v42, v4, v3
	v_add_f32_e32 v10, v12, v10
	v_add_f32_e32 v12, v14, v15
	v_sub_f32_e32 v14, v3, v2
	v_sub_f32_e32 v5, v8, v5
	;; [unrolled: 1-line block ×4, first 2 shown]
	v_add_f32_e32 v8, v25, v8
	v_add_f32_e32 v15, v26, v2
	v_add_f32_e32 v2, v16, v10
	v_add_f32_e32 v3, v17, v12
	v_mul_f32_e32 v6, 0x3f4a47b2, v6
	v_mul_f32_e32 v7, 0x3f4a47b2, v7
	;; [unrolled: 1-line block ×10, first 2 shown]
	v_fmamk_f32 v10, v10, 0xbf955555, v2
	v_fmamk_f32 v12, v12, 0xbf955555, v3
	;; [unrolled: 1-line block ×4, first 2 shown]
	v_fma_f32 v16, 0x3f3bfb3b, v20, -v16
	v_fma_f32 v17, 0x3f3bfb3b, v21, -v17
	;; [unrolled: 1-line block ×4, first 2 shown]
	v_fmamk_f32 v20, v5, 0xbeae86e6, v25
	v_fmamk_f32 v21, v4, 0xbeae86e6, v26
	v_fma_f32 v11, 0xbf5ff5aa, v11, -v25
	v_fma_f32 v14, 0xbf5ff5aa, v14, -v26
	;; [unrolled: 1-line block ×3, first 2 shown]
	v_fmac_f32_e32 v22, v60, v68
	v_fma_f32 v23, v60, v69, -v23
	v_fma_f32 v25, 0x3eae86e6, v5, -v27
	v_add_f32_e32 v27, v9, v10
	v_add_f32_e32 v42, v13, v12
	;; [unrolled: 1-line block ×5, first 2 shown]
	v_fmac_f32_e32 v20, 0xbee1c552, v8
	v_fmac_f32_e32 v21, 0xbee1c552, v15
	;; [unrolled: 1-line block ×5, first 2 shown]
	v_add_f32_e32 v44, v7, v12
	v_fmac_f32_e32 v25, 0xbee1c552, v8
	v_add_f32_e32 v4, v21, v27
	v_sub_f32_e32 v5, v42, v20
	v_add_f32_e32 v6, v26, v17
	v_sub_f32_e32 v8, v13, v14
	v_add_f32_e32 v9, v11, v16
	v_add_f32_e32 v10, v14, v13
	v_sub_f32_e32 v11, v16, v11
	v_sub_f32_e32 v12, v17, v26
	;; [unrolled: 1-line block ×3, first 2 shown]
	v_add_f32_e32 v15, v20, v42
	v_add_f32_e32 v16, v22, v33
	;; [unrolled: 1-line block ×3, first 2 shown]
	v_sub_f32_e32 v20, v22, v33
	v_sub_f32_e32 v21, v23, v34
	v_add_f32_e32 v22, v28, v45
	v_add_f32_e32 v23, v29, v32
	v_sub_f32_e32 v7, v44, v25
	v_add_f32_e32 v13, v25, v44
	v_sub_f32_e32 v25, v28, v45
	v_sub_f32_e32 v26, v29, v32
	v_add_f32_e32 v27, v30, v31
	v_add_f32_e32 v28, v46, v47
	v_sub_f32_e32 v29, v31, v30
	v_sub_f32_e32 v30, v47, v46
	v_add_f32_e32 v31, v22, v16
	v_add_f32_e32 v32, v23, v17
	v_sub_f32_e32 v33, v22, v16
	v_sub_f32_e32 v34, v23, v17
	;; [unrolled: 1-line block ×6, first 2 shown]
	v_add_f32_e32 v16, v29, v25
	v_add_f32_e32 v17, v30, v26
	v_sub_f32_e32 v45, v29, v25
	v_sub_f32_e32 v46, v30, v26
	v_add_f32_e32 v27, v27, v31
	v_add_f32_e32 v28, v28, v32
	v_sub_f32_e32 v26, v26, v21
	v_sub_f32_e32 v29, v20, v29
	v_sub_f32_e32 v30, v21, v30
	v_sub_f32_e32 v25, v25, v20
	v_add_f32_e32 v20, v16, v20
	v_add_f32_e32 v21, v17, v21
	;; [unrolled: 1-line block ×4, first 2 shown]
	v_mul_f32_e32 v18, 0x3f4a47b2, v42
	v_mul_f32_e32 v19, 0x3f4a47b2, v44
	v_mul_f32_e32 v31, 0x3d64c772, v22
	v_mul_f32_e32 v32, 0x3d64c772, v23
	v_mul_f32_e32 v42, 0x3f08b237, v45
	v_mul_f32_e32 v44, 0x3f08b237, v46
	v_mul_f32_e32 v46, 0xbf5ff5aa, v26
	v_mul_f32_e32 v35, v53, v71
	v_mul_f32_e32 v45, 0xbf5ff5aa, v25
	v_fmamk_f32 v27, v27, 0xbf955555, v16
	v_fmamk_f32 v28, v28, 0xbf955555, v17
	;; [unrolled: 1-line block ×4, first 2 shown]
	v_fma_f32 v31, 0x3f3bfb3b, v33, -v31
	v_fma_f32 v32, 0x3f3bfb3b, v34, -v32
	;; [unrolled: 1-line block ×4, first 2 shown]
	v_fmamk_f32 v33, v29, 0xbeae86e6, v42
	v_fmamk_f32 v34, v30, 0xbeae86e6, v44
	v_fma_f32 v42, 0xbf5ff5aa, v25, -v42
	v_fma_f32 v25, 0xbf5ff5aa, v26, -v44
	;; [unrolled: 1-line block ×3, first 2 shown]
	v_fmac_f32_e32 v35, v52, v70
	v_fma_f32 v29, 0x3eae86e6, v29, -v45
	v_add_f32_e32 v44, v22, v27
	v_add_f32_e32 v45, v23, v28
	;; [unrolled: 1-line block ×5, first 2 shown]
	v_fmac_f32_e32 v33, 0xbee1c552, v20
	v_fmac_f32_e32 v42, 0xbee1c552, v20
	;; [unrolled: 1-line block ×4, first 2 shown]
	v_add_f32_e32 v28, v19, v28
	v_fmac_f32_e32 v34, 0xbee1c552, v21
	v_fmac_f32_e32 v29, 0xbee1c552, v20
	v_sub_f32_e32 v19, v45, v33
	v_add_f32_e32 v20, v30, v27
	v_sub_f32_e32 v22, v26, v25
	v_add_f32_e32 v23, v42, v31
	v_add_f32_e32 v25, v25, v26
	v_sub_f32_e32 v26, v31, v42
	v_sub_f32_e32 v27, v27, v30
	v_add_f32_e32 v30, v33, v45
	v_add_f32_e32 v31, v35, v37
	;; [unrolled: 1-line block ×3, first 2 shown]
	v_sub_f32_e32 v33, v35, v37
	v_add_f32_e32 v35, v49, v43
	v_add_f32_e32 v37, v51, v36
	;; [unrolled: 1-line block ×3, first 2 shown]
	v_sub_f32_e32 v21, v28, v29
	v_add_f32_e32 v28, v29, v28
	v_sub_f32_e32 v29, v44, v34
	v_sub_f32_e32 v34, v48, v38
	;; [unrolled: 1-line block ×4, first 2 shown]
	v_add_f32_e32 v42, v50, v41
	v_add_f32_e32 v43, v40, v39
	v_sub_f32_e32 v41, v41, v50
	v_sub_f32_e32 v39, v39, v40
	v_add_f32_e32 v40, v35, v31
	v_add_f32_e32 v44, v37, v32
	v_sub_f32_e32 v45, v35, v31
	v_sub_f32_e32 v46, v37, v32
	;; [unrolled: 1-line block ×6, first 2 shown]
	v_add_f32_e32 v47, v41, v38
	v_add_f32_e32 v48, v39, v36
	v_sub_f32_e32 v49, v41, v38
	v_sub_f32_e32 v50, v39, v36
	;; [unrolled: 1-line block ×3, first 2 shown]
	v_add_f32_e32 v40, v42, v40
	v_add_f32_e32 v42, v43, v44
	v_sub_f32_e32 v36, v36, v34
	v_sub_f32_e32 v41, v33, v41
	;; [unrolled: 1-line block ×3, first 2 shown]
	v_add_f32_e32 v33, v47, v33
	v_add_f32_e32 v34, v48, v34
	;; [unrolled: 1-line block ×4, first 2 shown]
	v_mul_f32_e32 v31, 0x3f4a47b2, v31
	v_mul_f32_e32 v32, 0x3f4a47b2, v32
	;; [unrolled: 1-line block ×8, first 2 shown]
	v_fmamk_f32 v40, v40, 0xbf955555, v0
	v_fmamk_f32 v42, v42, 0xbf955555, v1
	v_fmamk_f32 v35, v35, 0x3d64c772, v31
	v_fmamk_f32 v37, v37, 0x3d64c772, v32
	v_fma_f32 v43, 0x3f3bfb3b, v45, -v43
	v_fma_f32 v44, 0x3f3bfb3b, v46, -v44
	;; [unrolled: 1-line block ×4, first 2 shown]
	v_fmamk_f32 v45, v41, 0xbeae86e6, v47
	v_fmamk_f32 v46, v39, 0xbeae86e6, v48
	v_fma_f32 v41, 0x3eae86e6, v41, -v49
	v_fma_f32 v39, 0x3eae86e6, v39, -v50
	;; [unrolled: 1-line block ×4, first 2 shown]
	v_add_f32_e32 v48, v35, v40
	v_add_f32_e32 v49, v37, v42
	;; [unrolled: 1-line block ×6, first 2 shown]
	v_fmac_f32_e32 v45, 0xbee1c552, v33
	v_fmac_f32_e32 v46, 0xbee1c552, v34
	;; [unrolled: 1-line block ×6, first 2 shown]
	ds_write2_b64 v169, v[6:7], v[8:9] offset0:102 offset1:153
	ds_write2_b64 v169, v[10:11], v[12:13] offset0:204 offset1:255
	ds_write_b64 v169, v[14:15] offset:2448
	v_add_nc_u32_e32 v6, 0x400, v180
	v_add_f32_e32 v31, v46, v48
	v_sub_f32_e32 v32, v49, v45
	v_add_f32_e32 v33, v39, v40
	v_sub_f32_e32 v34, v42, v41
	v_sub_f32_e32 v35, v37, v47
	v_add_f32_e32 v36, v38, v43
	v_add_f32_e32 v37, v47, v37
	v_sub_f32_e32 v38, v43, v38
	v_sub_f32_e32 v39, v40, v39
	v_add_f32_e32 v40, v41, v42
	v_sub_f32_e32 v41, v48, v46
	v_add_f32_e32 v42, v45, v49
	ds_write2_b64 v169, v[2:3], v[16:17] offset1:17
	ds_write2_b64 v180, v[18:19], v[20:21] offset0:51 offset1:102
	ds_write2_b64 v180, v[22:23], v[25:26] offset0:153 offset1:204
	v_add_nc_u32_e32 v2, 0x400, v179
	ds_write2_b64 v6, v[27:28], v[29:30] offset0:127 offset1:178
	ds_write2_b64 v169, v[0:1], v[4:5] offset0:34 offset1:51
	;; [unrolled: 1-line block ×5, first 2 shown]
	s_waitcnt lgkmcnt(0)
	s_barrier
	buffer_gl0_inv
	ds_read2_b64 v[0:3], v169 offset1:21
	v_mad_u64_u32 v[12:13], null, s10, v128, 0
	v_mad_u64_u32 v[14:15], null, s8, v120, 0
	v_mov_b32_e32 v10, v13
	v_mad_u64_u32 v[10:11], null, s11, v128, v[10:11]
	v_mov_b32_e32 v11, v15
	s_waitcnt lgkmcnt(0)
	v_mul_f32_e32 v4, v173, v1
	v_mul_f32_e32 v5, v173, v0
	;; [unrolled: 1-line block ×3, first 2 shown]
	v_mad_u64_u32 v[18:19], null, s9, v120, v[11:12]
	v_fmac_f32_e32 v4, v172, v0
	v_fma_f32 v5, v172, v1, -v5
	v_fmac_f32_e32 v6, v170, v2
	v_mul_f32_e32 v2, v171, v2
	v_mov_b32_e32 v13, v10
	v_cvt_f64_f32_e32 v[0:1], v4
	v_cvt_f64_f32_e32 v[4:5], v5
	;; [unrolled: 1-line block ×3, first 2 shown]
	v_fma_f32 v19, v170, v3, -v2
	v_mov_b32_e32 v15, v18
	v_lshlrev_b64 v[2:3], 3, v[12:13]
	v_add_co_u32 v2, s0, s14, v2
	v_add_co_ci_u32_e64 v3, s0, s15, v3, s0
	v_mul_f64 v[0:1], v[0:1], s[2:3]
	v_mul_f64 v[8:9], v[4:5], s[2:3]
	ds_read2_b64 v[4:7], v169 offset0:42 offset1:63
	v_mul_f64 v[12:13], v[16:17], s[2:3]
	v_cvt_f64_f32_e32 v[16:17], v19
	s_waitcnt lgkmcnt(0)
	v_mul_f32_e32 v18, v134, v5
	v_cvt_f32_f64_e32 v0, v[0:1]
	v_cvt_f32_f64_e32 v1, v[8:9]
	ds_read2_b64 v[8:11], v169 offset0:84 offset1:105
	v_mul_f32_e32 v19, v134, v4
	v_fmac_f32_e32 v18, v133, v4
	v_mul_f32_e32 v20, v136, v6
	v_mul_f32_e32 v22, v136, v7
	v_mul_f64 v[16:17], v[16:17], s[2:3]
	v_fma_f32 v19, v133, v5, -v19
	v_lshlrev_b64 v[4:5], 3, v[14:15]
	v_cvt_f64_f32_e32 v[14:15], v18
	v_fma_f32 v25, v135, v7, -v20
	v_fmac_f32_e32 v22, v135, v6
	v_cvt_f32_f64_e32 v12, v[12:13]
	v_cvt_f64_f32_e32 v[18:19], v19
	v_add_co_u32 v20, s0, v2, v4
	v_add_co_ci_u32_e64 v21, s0, v3, v5, s0
	ds_read2_b64 v[4:7], v169 offset0:126 offset1:147
	v_cvt_f64_f32_e32 v[22:23], v22
	v_cvt_f64_f32_e32 v[25:26], v25
	s_waitcnt lgkmcnt(1)
	v_mul_f32_e32 v27, v175, v9
	v_mul_f32_e32 v13, v105, v11
	s_mul_i32 s0, s9, 21
	s_add_i32 s1, s1, s0
	v_fmac_f32_e32 v27, v174, v8
	v_mul_f32_e32 v8, v175, v8
	v_fmac_f32_e32 v13, v104, v10
	v_mul_f32_e32 v10, v105, v10
	s_mul_i32 s0, s8, 21
	v_cvt_f64_f32_e32 v[27:28], v27
	v_fma_f32 v29, v174, v9, -v8
	v_mul_f64 v[8:9], v[14:15], s[2:3]
	v_fma_f32 v10, v104, v11, -v10
	v_mul_f64 v[18:19], v[18:19], s[2:3]
	s_lshl_b64 s[4:5], s[0:1], 3
	v_cvt_f64_f32_e32 v[14:15], v29
	v_cvt_f64_f32_e32 v[29:30], v13
	s_waitcnt lgkmcnt(0)
	v_mul_f32_e32 v11, v141, v5
	v_mul_f32_e32 v13, v141, v4
	v_cvt_f64_f32_e32 v[31:32], v10
	v_mul_f64 v[22:23], v[22:23], s[2:3]
	v_mul_f64 v[25:26], v[25:26], s[2:3]
	v_fmac_f32_e32 v11, v140, v4
	v_fma_f32 v10, v140, v5, -v13
	v_cvt_f32_f64_e32 v13, v[16:17]
	v_add_co_u32 v33, s0, v20, s4
	v_cvt_f64_f32_e32 v[16:17], v11
	v_add_co_ci_u32_e64 v34, s0, s5, v21, s0
	v_mul_f64 v[4:5], v[27:28], s[2:3]
	v_cvt_f64_f32_e32 v[27:28], v10
	v_cvt_f32_f64_e32 v35, v[8:9]
	ds_read2_b64 v[8:11], v169 offset0:168 offset1:189
	s_clause 0x1
	buffer_load_dword v40, off, s[20:23], 0 offset:16
	buffer_load_dword v41, off, s[20:23], 0 offset:20
	v_cvt_f32_f64_e32 v36, v[18:19]
	v_mul_f64 v[14:15], v[14:15], s[2:3]
	v_mul_f64 v[18:19], v[29:30], s[2:3]
	v_add_co_u32 v29, s0, v33, s4
	v_mul_f64 v[31:32], v[31:32], s[2:3]
	v_cvt_f32_f64_e32 v22, v[22:23]
	v_cvt_f32_f64_e32 v23, v[25:26]
	v_add_co_ci_u32_e64 v30, s0, s5, v34, s0
	v_add_co_u32 v25, s0, v29, s4
	v_mul_f64 v[16:17], v[16:17], s[2:3]
	v_add_co_ci_u32_e64 v26, s0, s5, v30, s0
	v_cvt_f32_f64_e32 v37, v[4:5]
	v_mul_f64 v[27:28], v[27:28], s[2:3]
	v_cvt_f32_f64_e32 v38, v[14:15]
	s_waitcnt vmcnt(0)
	v_mul_f32_e32 v39, v41, v7
	v_mul_f32_e32 v4, v41, v6
	s_clause 0x1
	buffer_load_dword v41, off, s[20:23], 0 offset:24
	buffer_load_dword v42, off, s[20:23], 0 offset:28
	global_store_dwordx2 v[20:21], v[0:1], off
	global_store_dwordx2 v[33:34], v[12:13], off
	global_store_dwordx2 v[29:30], v[35:36], off
	global_store_dwordx2 v[25:26], v[22:23], off
	v_add_co_u32 v0, s0, v25, s4
	v_fmac_f32_e32 v39, v40, v6
	v_fma_f32 v4, v40, v7, -v4
	v_add_co_ci_u32_e64 v1, s0, s5, v26, s0
	v_cvt_f32_f64_e32 v12, v[16:17]
	v_cvt_f64_f32_e32 v[14:15], v39
	v_add_co_u32 v16, s0, v0, s4
	v_cvt_f32_f64_e32 v13, v[27:28]
	v_add_co_ci_u32_e64 v17, s0, s5, v1, s0
	global_store_dwordx2 v[0:1], v[37:38], off
	s_waitcnt lgkmcnt(0)
	v_mul_f32_e32 v22, v130, v11
	v_fmac_f32_e32 v22, v129, v10
	v_cvt_f64_f32_e32 v[22:23], v22
	v_mul_f64 v[0:1], v[14:15], s[2:3]
	v_mul_f64 v[22:23], v[22:23], s[2:3]
	v_cvt_f32_f64_e32 v0, v[0:1]
	s_waitcnt vmcnt(0)
	v_mul_f32_e32 v5, v42, v9
	v_mul_f32_e32 v6, v42, v8
	v_fmac_f32_e32 v5, v41, v8
	v_cvt_f32_f64_e32 v8, v[18:19]
	v_cvt_f64_f32_e32 v[18:19], v4
	v_fma_f32 v6, v41, v9, -v6
	v_cvt_f32_f64_e32 v9, v[31:32]
	v_cvt_f64_f32_e32 v[31:32], v5
	v_cvt_f64_f32_e32 v[39:40], v6
	ds_read2_b64 v[4:7], v169 offset0:210 offset1:231
	v_mul_f64 v[14:15], v[18:19], s[2:3]
	global_store_dwordx2 v[16:17], v[8:9], off
	v_mul_f32_e32 v8, v130, v10
	v_add_co_u32 v16, s0, v16, s4
	s_waitcnt lgkmcnt(0)
	v_mul_f32_e32 v9, v132, v5
	v_mul_f32_e32 v10, v132, v4
	v_fma_f32 v8, v129, v11, -v8
	v_add_co_ci_u32_e64 v17, s0, s5, v17, s0
	v_fmac_f32_e32 v9, v131, v4
	v_fma_f32 v10, v131, v5, -v10
	v_cvt_f64_f32_e32 v[4:5], v8
	v_add_nc_u32_e32 v8, 0x400, v169
	global_store_dwordx2 v[16:17], v[12:13], off
	v_mul_f64 v[18:19], v[31:32], s[2:3]
	v_cvt_f64_f32_e32 v[25:26], v9
	v_cvt_f64_f32_e32 v[27:28], v10
	ds_read2_b64 v[8:11], v8 offset0:124 offset1:145
	v_mul_f64 v[20:21], v[39:40], s[2:3]
	v_add_co_u32 v16, s0, v16, s4
	v_cvt_f32_f64_e32 v1, v[14:15]
	ds_read2_b64 v[12:15], v24 offset0:38 offset1:59
	s_clause 0x1
	buffer_load_dword v31, off, s[20:23], 0 offset:8
	buffer_load_dword v32, off, s[20:23], 0 offset:12
	v_add_co_ci_u32_e64 v17, s0, s5, v17, s0
	v_mul_f64 v[4:5], v[4:5], s[2:3]
	v_cvt_f32_f64_e32 v18, v[18:19]
	s_waitcnt lgkmcnt(1)
	v_mul_f32_e32 v33, v117, v9
	v_mul_f32_e32 v34, v117, v8
	v_cvt_f32_f64_e32 v19, v[20:21]
	v_add_co_u32 v20, s0, v16, s4
	s_waitcnt lgkmcnt(0)
	v_mul_f32_e32 v37, v119, v13
	v_fmac_f32_e32 v33, v116, v8
	v_fma_f32 v34, v116, v9, -v34
	v_mul_f32_e32 v40, v125, v14
	v_add_co_ci_u32_e64 v21, s0, s5, v17, s0
	v_fmac_f32_e32 v37, v118, v12
	v_mul_f32_e32 v12, v119, v12
	v_cvt_f64_f32_e32 v[8:9], v33
	v_fma_f32 v40, v124, v15, -v40
	v_fma_f32 v12, v118, v13, -v12
	v_cvt_f64_f32_e32 v[12:13], v12
	v_mul_f64 v[8:9], v[8:9], s[2:3]
	v_mul_f64 v[12:13], v[12:13], s[2:3]
	v_cvt_f32_f64_e32 v8, v[8:9]
	s_waitcnt vmcnt(0)
	v_mul_f32_e32 v29, v32, v7
	v_mul_f32_e32 v30, v32, v6
	v_fmac_f32_e32 v29, v31, v6
	v_fma_f32 v31, v31, v7, -v30
	v_mul_f64 v[6:7], v[25:26], s[2:3]
	v_mul_f64 v[25:26], v[27:28], s[2:3]
	v_cvt_f64_f32_e32 v[27:28], v29
	ds_read_b64 v[29:30], v169 offset:2688
	s_clause 0x1
	buffer_load_dword v38, off, s[20:23], 0
	buffer_load_dword v39, off, s[20:23], 0 offset:4
	v_cvt_f64_f32_e32 v[31:32], v31
	global_store_dwordx2 v[16:17], v[0:1], off
	global_store_dwordx2 v[20:21], v[18:19], off
	v_cvt_f32_f64_e32 v1, v[4:5]
	v_add_co_u32 v18, s0, v20, s4
	v_cvt_f32_f64_e32 v0, v[22:23]
	v_add_co_ci_u32_e64 v19, s0, s5, v21, s0
	v_cvt_f32_f64_e32 v6, v[6:7]
	v_cvt_f32_f64_e32 v7, v[25:26]
	s_waitcnt lgkmcnt(0)
	v_mul_f32_e32 v41, v127, v30
	v_mul_f32_e32 v42, v127, v29
	v_mul_f64 v[4:5], v[27:28], s[2:3]
	v_mul_f64 v[16:17], v[31:32], s[2:3]
	v_fmac_f32_e32 v41, v126, v29
	v_fma_f32 v42, v126, v30, -v42
	v_cvt_f64_f32_e32 v[29:30], v40
	global_store_dwordx2 v[18:19], v[0:1], off
	v_cvt_f32_f64_e32 v4, v[4:5]
	v_cvt_f32_f64_e32 v5, v[16:17]
	v_mul_f64 v[27:28], v[29:30], s[2:3]
	s_waitcnt vmcnt(0)
	v_mul_f32_e32 v35, v39, v11
	v_mul_f32_e32 v36, v39, v10
	;; [unrolled: 1-line block ×3, first 2 shown]
	v_fmac_f32_e32 v35, v38, v10
	v_fma_f32 v36, v38, v11, -v36
	v_cvt_f64_f32_e32 v[10:11], v34
	v_fmac_f32_e32 v39, v124, v14
	v_cvt_f64_f32_e32 v[37:38], v37
	v_cvt_f64_f32_e32 v[33:34], v35
	;; [unrolled: 1-line block ×6, first 2 shown]
	v_mul_f64 v[10:11], v[10:11], s[2:3]
	v_mul_f64 v[25:26], v[37:38], s[2:3]
	;; [unrolled: 1-line block ×4, first 2 shown]
	v_add_co_u32 v33, s0, v18, s4
	v_mul_f64 v[14:15], v[14:15], s[2:3]
	v_mul_f64 v[29:30], v[39:40], s[2:3]
	v_mul_f64 v[31:32], v[41:42], s[2:3]
	v_add_co_ci_u32_e64 v34, s0, s5, v19, s0
	v_add_co_u32 v16, s0, v33, s4
	v_add_co_ci_u32_e64 v17, s0, s5, v34, s0
	global_store_dwordx2 v[33:34], v[6:7], off
	global_store_dwordx2 v[16:17], v[4:5], off
	v_cvt_f32_f64_e32 v9, v[10:11]
	v_add_co_u32 v10, s0, v16, s4
	v_add_co_ci_u32_e64 v11, s0, s5, v17, s0
	v_cvt_f32_f64_e32 v20, v[20:21]
	v_cvt_f32_f64_e32 v21, v[22:23]
	;; [unrolled: 1-line block ×3, first 2 shown]
	v_add_co_u32 v25, s0, v10, s4
	v_cvt_f32_f64_e32 v23, v[12:13]
	v_add_co_ci_u32_e64 v26, s0, s5, v11, s0
	v_cvt_f32_f64_e32 v12, v[14:15]
	v_cvt_f32_f64_e32 v13, v[27:28]
	;; [unrolled: 1-line block ×4, first 2 shown]
	v_add_co_u32 v18, s0, v25, s4
	v_add_co_ci_u32_e64 v19, s0, s5, v26, s0
	v_add_co_u32 v6, s0, v18, s4
	v_add_co_ci_u32_e64 v7, s0, s5, v19, s0
	;; [unrolled: 2-line block ×3, first 2 shown]
	global_store_dwordx2 v[10:11], v[8:9], off
	global_store_dwordx2 v[25:26], v[20:21], off
	;; [unrolled: 1-line block ×5, first 2 shown]
	s_and_b32 exec_lo, exec_lo, vcc_lo
	s_cbranch_execz .LBB0_15
; %bb.14:
	global_load_dwordx2 v[8:9], v[121:122], off offset:136
	ds_read2_b64 v[4:7], v169 offset0:17 offset1:38
	v_mad_u64_u32 v[0:1], null, 0xfffff608, s8, v[0:1]
	s_mul_i32 s0, s9, 0xfffff608
	s_mul_hi_u32 s10, s8, 0x150
	s_sub_i32 s0, s0, s8
	s_mul_i32 s1, s8, 0x150
	v_add_nc_u32_e32 v1, s0, v1
	s_mul_i32 s0, s9, 0x150
	s_add_i32 s0, s10, s0
	s_waitcnt vmcnt(0) lgkmcnt(0)
	v_mul_f32_e32 v10, v5, v9
	v_mul_f32_e32 v9, v4, v9
	v_fmac_f32_e32 v10, v4, v8
	v_fma_f32 v8, v8, v5, -v9
	v_cvt_f64_f32_e32 v[4:5], v10
	v_cvt_f64_f32_e32 v[8:9], v8
	v_mul_f64 v[4:5], v[4:5], s[2:3]
	v_mul_f64 v[8:9], v[8:9], s[2:3]
	v_cvt_f32_f64_e32 v4, v[4:5]
	v_cvt_f32_f64_e32 v5, v[8:9]
	global_store_dwordx2 v[0:1], v[4:5], off
	global_load_dwordx2 v[4:5], v[121:122], off offset:304
	v_add_co_u32 v0, vcc_lo, v0, s4
	v_add_co_ci_u32_e32 v1, vcc_lo, s5, v1, vcc_lo
	s_waitcnt vmcnt(0)
	v_mul_f32_e32 v8, v7, v5
	v_mul_f32_e32 v5, v6, v5
	v_fmac_f32_e32 v8, v6, v4
	v_fma_f32 v6, v4, v7, -v5
	v_cvt_f64_f32_e32 v[4:5], v8
	v_cvt_f64_f32_e32 v[6:7], v6
	v_mul_f64 v[4:5], v[4:5], s[2:3]
	v_mul_f64 v[6:7], v[6:7], s[2:3]
	v_cvt_f32_f64_e32 v4, v[4:5]
	v_cvt_f32_f64_e32 v5, v[6:7]
	global_store_dwordx2 v[0:1], v[4:5], off
	global_load_dwordx2 v[8:9], v[121:122], off offset:472
	ds_read2_b64 v[4:7], v169 offset0:59 offset1:80
	v_add_co_u32 v0, vcc_lo, v0, s4
	v_add_co_ci_u32_e32 v1, vcc_lo, s5, v1, vcc_lo
	s_waitcnt vmcnt(0) lgkmcnt(0)
	v_mul_f32_e32 v10, v5, v9
	v_mul_f32_e32 v9, v4, v9
	v_fmac_f32_e32 v10, v4, v8
	v_fma_f32 v8, v8, v5, -v9
	v_cvt_f64_f32_e32 v[4:5], v10
	v_cvt_f64_f32_e32 v[8:9], v8
	v_mul_f64 v[4:5], v[4:5], s[2:3]
	v_mul_f64 v[8:9], v[8:9], s[2:3]
	v_cvt_f32_f64_e32 v4, v[4:5]
	v_cvt_f32_f64_e32 v5, v[8:9]
	global_store_dwordx2 v[0:1], v[4:5], off
	global_load_dwordx2 v[4:5], v[121:122], off offset:640
	s_waitcnt vmcnt(0)
	v_mul_f32_e32 v8, v7, v5
	v_mul_f32_e32 v5, v6, v5
	v_fmac_f32_e32 v8, v6, v4
	v_fma_f32 v6, v4, v7, -v5
	v_cvt_f64_f32_e32 v[4:5], v8
	v_cvt_f64_f32_e32 v[6:7], v6
	v_mad_u64_u32 v[8:9], null, s8, v137, 0
	v_mad_u64_u32 v[9:10], null, s9, v137, v[9:10]
	v_mul_f64 v[4:5], v[4:5], s[2:3]
	v_mul_f64 v[6:7], v[6:7], s[2:3]
	v_cvt_f32_f64_e32 v4, v[4:5]
	v_cvt_f32_f64_e32 v5, v[6:7]
	v_lshlrev_b64 v[6:7], 3, v[8:9]
	v_add_co_u32 v6, vcc_lo, v2, v6
	v_add_co_ci_u32_e32 v7, vcc_lo, v3, v7, vcc_lo
	v_add_co_u32 v0, vcc_lo, v0, s1
	v_add_co_ci_u32_e32 v1, vcc_lo, s0, v1, vcc_lo
	global_store_dwordx2 v[6:7], v[4:5], off
	global_load_dwordx2 v[8:9], v[121:122], off offset:808
	ds_read2_b64 v[4:7], v169 offset0:101 offset1:122
	s_waitcnt vmcnt(0) lgkmcnt(0)
	v_mul_f32_e32 v10, v5, v9
	v_mul_f32_e32 v9, v4, v9
	v_fmac_f32_e32 v10, v4, v8
	v_fma_f32 v8, v8, v5, -v9
	v_cvt_f64_f32_e32 v[4:5], v10
	v_cvt_f64_f32_e32 v[8:9], v8
	v_mul_f64 v[4:5], v[4:5], s[2:3]
	v_mul_f64 v[8:9], v[8:9], s[2:3]
	v_cvt_f32_f64_e32 v4, v[4:5]
	v_cvt_f32_f64_e32 v5, v[8:9]
	global_store_dwordx2 v[0:1], v[4:5], off
	global_load_dwordx2 v[4:5], v[121:122], off offset:976
	v_add_co_u32 v0, vcc_lo, v0, s4
	v_add_co_ci_u32_e32 v1, vcc_lo, s5, v1, vcc_lo
	s_waitcnt vmcnt(0)
	v_mul_f32_e32 v8, v7, v5
	v_mul_f32_e32 v5, v6, v5
	v_fmac_f32_e32 v8, v6, v4
	v_fma_f32 v6, v4, v7, -v5
	v_cvt_f64_f32_e32 v[4:5], v8
	v_cvt_f64_f32_e32 v[6:7], v6
	v_mul_f64 v[4:5], v[4:5], s[2:3]
	v_mul_f64 v[6:7], v[6:7], s[2:3]
	v_cvt_f32_f64_e32 v4, v[4:5]
	v_cvt_f32_f64_e32 v5, v[6:7]
	global_store_dwordx2 v[0:1], v[4:5], off
	global_load_dwordx2 v[8:9], v[121:122], off offset:1144
	ds_read2_b64 v[4:7], v169 offset0:143 offset1:164
	v_add_co_u32 v0, vcc_lo, v0, s4
	v_add_co_ci_u32_e32 v1, vcc_lo, s5, v1, vcc_lo
	s_waitcnt vmcnt(0) lgkmcnt(0)
	v_mul_f32_e32 v10, v5, v9
	v_mul_f32_e32 v9, v4, v9
	v_fmac_f32_e32 v10, v4, v8
	v_fma_f32 v8, v8, v5, -v9
	v_cvt_f64_f32_e32 v[4:5], v10
	v_cvt_f64_f32_e32 v[8:9], v8
	v_mul_f64 v[4:5], v[4:5], s[2:3]
	v_mul_f64 v[8:9], v[8:9], s[2:3]
	v_cvt_f32_f64_e32 v4, v[4:5]
	v_cvt_f32_f64_e32 v5, v[8:9]
	global_store_dwordx2 v[0:1], v[4:5], off
	global_load_dwordx2 v[4:5], v[121:122], off offset:1312
	s_waitcnt vmcnt(0)
	v_mul_f32_e32 v8, v7, v5
	v_mul_f32_e32 v5, v6, v5
	v_fmac_f32_e32 v8, v6, v4
	v_fma_f32 v6, v4, v7, -v5
	v_cvt_f64_f32_e32 v[4:5], v8
	v_cvt_f64_f32_e32 v[6:7], v6
	v_mad_u64_u32 v[8:9], null, s8, v114, 0
	v_mad_u64_u32 v[9:10], null, s9, v114, v[9:10]
	v_mul_f64 v[4:5], v[4:5], s[2:3]
	v_mul_f64 v[6:7], v[6:7], s[2:3]
	v_cvt_f32_f64_e32 v4, v[4:5]
	v_cvt_f32_f64_e32 v5, v[6:7]
	v_lshlrev_b64 v[6:7], 3, v[8:9]
	v_add_co_u32 v6, vcc_lo, v2, v6
	v_add_co_ci_u32_e32 v7, vcc_lo, v3, v7, vcc_lo
	v_add_co_u32 v0, vcc_lo, v0, s1
	v_add_co_ci_u32_e32 v1, vcc_lo, s0, v1, vcc_lo
	global_store_dwordx2 v[6:7], v[4:5], off
	global_load_dwordx2 v[8:9], v[121:122], off offset:1480
	ds_read2_b64 v[4:7], v169 offset0:185 offset1:206
	s_waitcnt vmcnt(0) lgkmcnt(0)
	v_mul_f32_e32 v10, v5, v9
	v_mul_f32_e32 v9, v4, v9
	v_fmac_f32_e32 v10, v4, v8
	v_fma_f32 v8, v8, v5, -v9
	v_cvt_f64_f32_e32 v[4:5], v10
	v_cvt_f64_f32_e32 v[8:9], v8
	v_mul_f64 v[4:5], v[4:5], s[2:3]
	v_mul_f64 v[8:9], v[8:9], s[2:3]
	v_cvt_f32_f64_e32 v4, v[4:5]
	v_cvt_f32_f64_e32 v5, v[8:9]
	global_store_dwordx2 v[0:1], v[4:5], off
	global_load_dwordx2 v[4:5], v[121:122], off offset:1648
	v_add_co_u32 v0, vcc_lo, v0, s4
	v_add_co_ci_u32_e32 v1, vcc_lo, s5, v1, vcc_lo
	s_waitcnt vmcnt(0)
	v_mul_f32_e32 v8, v7, v5
	v_mul_f32_e32 v5, v6, v5
	v_fmac_f32_e32 v8, v6, v4
	v_fma_f32 v6, v4, v7, -v5
	v_cvt_f64_f32_e32 v[4:5], v8
	v_cvt_f64_f32_e32 v[6:7], v6
	v_mul_f64 v[4:5], v[4:5], s[2:3]
	v_mul_f64 v[6:7], v[6:7], s[2:3]
	v_cvt_f32_f64_e32 v4, v[4:5]
	v_cvt_f32_f64_e32 v5, v[6:7]
	global_store_dwordx2 v[0:1], v[4:5], off
	global_load_dwordx2 v[8:9], v[121:122], off offset:1816
	ds_read2_b64 v[4:7], v169 offset0:227 offset1:248
	v_add_co_u32 v0, vcc_lo, v0, s4
	v_add_co_ci_u32_e32 v1, vcc_lo, s5, v1, vcc_lo
	s_waitcnt vmcnt(0) lgkmcnt(0)
	v_mul_f32_e32 v10, v5, v9
	v_mul_f32_e32 v9, v4, v9
	v_fmac_f32_e32 v10, v4, v8
	v_fma_f32 v8, v8, v5, -v9
	v_cvt_f64_f32_e32 v[4:5], v10
	v_cvt_f64_f32_e32 v[8:9], v8
	v_mul_f64 v[4:5], v[4:5], s[2:3]
	v_mul_f64 v[8:9], v[8:9], s[2:3]
	v_cvt_f32_f64_e32 v4, v[4:5]
	v_cvt_f32_f64_e32 v5, v[8:9]
	global_store_dwordx2 v[0:1], v[4:5], off
	global_load_dwordx2 v[4:5], v[121:122], off offset:1984
	s_waitcnt vmcnt(0)
	v_mul_f32_e32 v8, v7, v5
	v_mul_f32_e32 v5, v6, v5
	v_fmac_f32_e32 v8, v6, v4
	v_fma_f32 v6, v4, v7, -v5
	v_cvt_f64_f32_e32 v[4:5], v8
	v_cvt_f64_f32_e32 v[6:7], v6
	v_mad_u64_u32 v[8:9], null, s8, v115, 0
	v_mad_u64_u32 v[9:10], null, s9, v115, v[9:10]
	v_mul_f64 v[4:5], v[4:5], s[2:3]
	v_mul_f64 v[6:7], v[6:7], s[2:3]
	v_cvt_f32_f64_e32 v4, v[4:5]
	v_cvt_f32_f64_e32 v5, v[6:7]
	v_lshlrev_b64 v[6:7], 3, v[8:9]
	v_add_co_u32 v6, vcc_lo, v2, v6
	v_add_co_ci_u32_e32 v7, vcc_lo, v3, v7, vcc_lo
	v_add_co_u32 v0, vcc_lo, v0, s1
	v_add_co_ci_u32_e32 v1, vcc_lo, s0, v1, vcc_lo
	global_store_dwordx2 v[6:7], v[4:5], off
	global_load_dwordx2 v[8:9], v[138:139], off offset:104
	ds_read2_b64 v[4:7], v24 offset0:13 offset1:34
	s_waitcnt vmcnt(0) lgkmcnt(0)
	v_mul_f32_e32 v10, v5, v9
	v_mul_f32_e32 v9, v4, v9
	v_fmac_f32_e32 v10, v4, v8
	v_fma_f32 v8, v8, v5, -v9
	v_cvt_f64_f32_e32 v[4:5], v10
	v_cvt_f64_f32_e32 v[8:9], v8
	v_mul_f64 v[4:5], v[4:5], s[2:3]
	v_mul_f64 v[8:9], v[8:9], s[2:3]
	v_cvt_f32_f64_e32 v4, v[4:5]
	v_cvt_f32_f64_e32 v5, v[8:9]
	global_store_dwordx2 v[0:1], v[4:5], off
	global_load_dwordx2 v[4:5], v[138:139], off offset:272
	v_add_co_u32 v0, vcc_lo, v0, s4
	v_add_co_ci_u32_e32 v1, vcc_lo, s5, v1, vcc_lo
	s_waitcnt vmcnt(0)
	v_mul_f32_e32 v8, v7, v5
	v_mul_f32_e32 v5, v6, v5
	v_fmac_f32_e32 v8, v6, v4
	v_fma_f32 v6, v4, v7, -v5
	v_cvt_f64_f32_e32 v[4:5], v8
	v_cvt_f64_f32_e32 v[6:7], v6
	v_mul_f64 v[4:5], v[4:5], s[2:3]
	v_mul_f64 v[6:7], v[6:7], s[2:3]
	v_cvt_f32_f64_e32 v4, v[4:5]
	v_cvt_f32_f64_e32 v5, v[6:7]
	global_store_dwordx2 v[0:1], v[4:5], off
	global_load_dwordx2 v[8:9], v[138:139], off offset:440
	ds_read2_b64 v[4:7], v24 offset0:55 offset1:76
	v_add_co_u32 v0, vcc_lo, v0, s4
	v_add_co_ci_u32_e32 v1, vcc_lo, s5, v1, vcc_lo
	s_waitcnt vmcnt(0) lgkmcnt(0)
	v_mul_f32_e32 v10, v5, v9
	v_mul_f32_e32 v9, v4, v9
	v_fmac_f32_e32 v10, v4, v8
	v_fma_f32 v8, v8, v5, -v9
	v_cvt_f64_f32_e32 v[4:5], v10
	v_cvt_f64_f32_e32 v[8:9], v8
	v_mul_f64 v[4:5], v[4:5], s[2:3]
	v_mul_f64 v[8:9], v[8:9], s[2:3]
	v_cvt_f32_f64_e32 v4, v[4:5]
	v_cvt_f32_f64_e32 v5, v[8:9]
	v_lshlrev_b32_e32 v8, 3, v113
	global_store_dwordx2 v[0:1], v[4:5], off
	global_load_dwordx2 v[4:5], v8, s[6:7]
	s_waitcnt vmcnt(0)
	v_mul_f32_e32 v8, v7, v5
	v_mul_f32_e32 v5, v6, v5
	v_fmac_f32_e32 v8, v6, v4
	v_fma_f32 v6, v4, v7, -v5
	v_cvt_f64_f32_e32 v[4:5], v8
	v_cvt_f64_f32_e32 v[6:7], v6
	v_mad_u64_u32 v[8:9], null, s8, v113, 0
	v_mad_u64_u32 v[9:10], null, s9, v113, v[9:10]
	v_mul_f64 v[4:5], v[4:5], s[2:3]
	v_mul_f64 v[6:7], v[6:7], s[2:3]
	v_cvt_f32_f64_e32 v4, v[4:5]
	v_cvt_f32_f64_e32 v5, v[6:7]
	v_lshlrev_b64 v[6:7], 3, v[8:9]
	v_add_co_u32 v2, vcc_lo, v2, v6
	v_add_co_ci_u32_e32 v3, vcc_lo, v3, v7, vcc_lo
	v_add_co_u32 v0, vcc_lo, v0, s1
	v_add_co_ci_u32_e32 v1, vcc_lo, s0, v1, vcc_lo
	global_store_dwordx2 v[2:3], v[4:5], off
	global_load_dwordx2 v[2:3], v[138:139], off offset:776
	ds_read_b64 v[4:5], v169 offset:2824
	s_waitcnt vmcnt(0) lgkmcnt(0)
	v_mul_f32_e32 v6, v5, v3
	v_mul_f32_e32 v3, v4, v3
	v_fmac_f32_e32 v6, v4, v2
	v_fma_f32 v4, v2, v5, -v3
	v_cvt_f64_f32_e32 v[2:3], v6
	v_cvt_f64_f32_e32 v[4:5], v4
	v_mul_f64 v[2:3], v[2:3], s[2:3]
	v_mul_f64 v[4:5], v[4:5], s[2:3]
	v_cvt_f32_f64_e32 v2, v[2:3]
	v_cvt_f32_f64_e32 v3, v[4:5]
	global_store_dwordx2 v[0:1], v[2:3], off
.LBB0_15:
	s_endpgm
	.section	.rodata,"a",@progbits
	.p2align	6, 0x0
	.amdhsa_kernel bluestein_single_fwd_len357_dim1_sp_op_CI_CI
		.amdhsa_group_segment_fixed_size 31416
		.amdhsa_private_segment_fixed_size 116
		.amdhsa_kernarg_size 104
		.amdhsa_user_sgpr_count 6
		.amdhsa_user_sgpr_private_segment_buffer 1
		.amdhsa_user_sgpr_dispatch_ptr 0
		.amdhsa_user_sgpr_queue_ptr 0
		.amdhsa_user_sgpr_kernarg_segment_ptr 1
		.amdhsa_user_sgpr_dispatch_id 0
		.amdhsa_user_sgpr_flat_scratch_init 0
		.amdhsa_user_sgpr_private_segment_size 0
		.amdhsa_wavefront_size32 1
		.amdhsa_uses_dynamic_stack 0
		.amdhsa_system_sgpr_private_segment_wavefront_offset 1
		.amdhsa_system_sgpr_workgroup_id_x 1
		.amdhsa_system_sgpr_workgroup_id_y 0
		.amdhsa_system_sgpr_workgroup_id_z 0
		.amdhsa_system_sgpr_workgroup_info 0
		.amdhsa_system_vgpr_workitem_id 0
		.amdhsa_next_free_vgpr 256
		.amdhsa_next_free_sgpr 24
		.amdhsa_reserve_vcc 1
		.amdhsa_reserve_flat_scratch 0
		.amdhsa_float_round_mode_32 0
		.amdhsa_float_round_mode_16_64 0
		.amdhsa_float_denorm_mode_32 3
		.amdhsa_float_denorm_mode_16_64 3
		.amdhsa_dx10_clamp 1
		.amdhsa_ieee_mode 1
		.amdhsa_fp16_overflow 0
		.amdhsa_workgroup_processor_mode 1
		.amdhsa_memory_ordered 1
		.amdhsa_forward_progress 0
		.amdhsa_shared_vgpr_count 0
		.amdhsa_exception_fp_ieee_invalid_op 0
		.amdhsa_exception_fp_denorm_src 0
		.amdhsa_exception_fp_ieee_div_zero 0
		.amdhsa_exception_fp_ieee_overflow 0
		.amdhsa_exception_fp_ieee_underflow 0
		.amdhsa_exception_fp_ieee_inexact 0
		.amdhsa_exception_int_div_zero 0
	.end_amdhsa_kernel
	.text
.Lfunc_end0:
	.size	bluestein_single_fwd_len357_dim1_sp_op_CI_CI, .Lfunc_end0-bluestein_single_fwd_len357_dim1_sp_op_CI_CI
                                        ; -- End function
	.section	.AMDGPU.csdata,"",@progbits
; Kernel info:
; codeLenInByte = 34612
; NumSgprs: 26
; NumVgprs: 256
; ScratchSize: 116
; MemoryBound: 0
; FloatMode: 240
; IeeeMode: 1
; LDSByteSize: 31416 bytes/workgroup (compile time only)
; SGPRBlocks: 3
; VGPRBlocks: 31
; NumSGPRsForWavesPerEU: 26
; NumVGPRsForWavesPerEU: 256
; Occupancy: 4
; WaveLimiterHint : 1
; COMPUTE_PGM_RSRC2:SCRATCH_EN: 1
; COMPUTE_PGM_RSRC2:USER_SGPR: 6
; COMPUTE_PGM_RSRC2:TRAP_HANDLER: 0
; COMPUTE_PGM_RSRC2:TGID_X_EN: 1
; COMPUTE_PGM_RSRC2:TGID_Y_EN: 0
; COMPUTE_PGM_RSRC2:TGID_Z_EN: 0
; COMPUTE_PGM_RSRC2:TIDIG_COMP_CNT: 0
	.text
	.p2alignl 6, 3214868480
	.fill 48, 4, 3214868480
	.type	__hip_cuid_18f5974c06aeac17,@object ; @__hip_cuid_18f5974c06aeac17
	.section	.bss,"aw",@nobits
	.globl	__hip_cuid_18f5974c06aeac17
__hip_cuid_18f5974c06aeac17:
	.byte	0                               ; 0x0
	.size	__hip_cuid_18f5974c06aeac17, 1

	.ident	"AMD clang version 19.0.0git (https://github.com/RadeonOpenCompute/llvm-project roc-6.4.0 25133 c7fe45cf4b819c5991fe208aaa96edf142730f1d)"
	.section	".note.GNU-stack","",@progbits
	.addrsig
	.addrsig_sym __hip_cuid_18f5974c06aeac17
	.amdgpu_metadata
---
amdhsa.kernels:
  - .args:
      - .actual_access:  read_only
        .address_space:  global
        .offset:         0
        .size:           8
        .value_kind:     global_buffer
      - .actual_access:  read_only
        .address_space:  global
        .offset:         8
        .size:           8
        .value_kind:     global_buffer
      - .actual_access:  read_only
        .address_space:  global
        .offset:         16
        .size:           8
        .value_kind:     global_buffer
      - .actual_access:  read_only
        .address_space:  global
        .offset:         24
        .size:           8
        .value_kind:     global_buffer
      - .actual_access:  read_only
        .address_space:  global
        .offset:         32
        .size:           8
        .value_kind:     global_buffer
      - .offset:         40
        .size:           8
        .value_kind:     by_value
      - .address_space:  global
        .offset:         48
        .size:           8
        .value_kind:     global_buffer
      - .address_space:  global
        .offset:         56
        .size:           8
        .value_kind:     global_buffer
      - .address_space:  global
        .offset:         64
        .size:           8
        .value_kind:     global_buffer
      - .address_space:  global
        .offset:         72
        .size:           8
        .value_kind:     global_buffer
      - .offset:         80
        .size:           4
        .value_kind:     by_value
      - .address_space:  global
        .offset:         88
        .size:           8
        .value_kind:     global_buffer
      - .address_space:  global
        .offset:         96
        .size:           8
        .value_kind:     global_buffer
    .group_segment_fixed_size: 31416
    .kernarg_segment_align: 8
    .kernarg_segment_size: 104
    .language:       OpenCL C
    .language_version:
      - 2
      - 0
    .max_flat_workgroup_size: 187
    .name:           bluestein_single_fwd_len357_dim1_sp_op_CI_CI
    .private_segment_fixed_size: 116
    .sgpr_count:     26
    .sgpr_spill_count: 0
    .symbol:         bluestein_single_fwd_len357_dim1_sp_op_CI_CI.kd
    .uniform_work_group_size: 1
    .uses_dynamic_stack: false
    .vgpr_count:     256
    .vgpr_spill_count: 28
    .wavefront_size: 32
    .workgroup_processor_mode: 1
amdhsa.target:   amdgcn-amd-amdhsa--gfx1030
amdhsa.version:
  - 1
  - 2
...

	.end_amdgpu_metadata
